;; amdgpu-corpus repo=ROCm/rocFFT kind=compiled arch=gfx906 opt=O3
	.text
	.amdgcn_target "amdgcn-amd-amdhsa--gfx906"
	.amdhsa_code_object_version 6
	.protected	bluestein_single_back_len660_dim1_dp_op_CI_CI ; -- Begin function bluestein_single_back_len660_dim1_dp_op_CI_CI
	.globl	bluestein_single_back_len660_dim1_dp_op_CI_CI
	.p2align	8
	.type	bluestein_single_back_len660_dim1_dp_op_CI_CI,@function
bluestein_single_back_len660_dim1_dp_op_CI_CI: ; @bluestein_single_back_len660_dim1_dp_op_CI_CI
; %bb.0:
	s_mov_b64 s[46:47], s[2:3]
	s_mov_b64 s[44:45], s[0:1]
	s_load_dwordx4 s[0:3], s[4:5], 0x28
	v_mul_u32_u24_e32 v1, 0x254, v0
	v_add_u32_sdwa v243, s6, v1 dst_sel:DWORD dst_unused:UNUSED_PAD src0_sel:DWORD src1_sel:WORD_1
	v_mov_b32_e32 v244, 0
	s_add_u32 s44, s44, s7
	s_waitcnt lgkmcnt(0)
	v_cmp_gt_u64_e32 vcc, s[0:1], v[243:244]
	s_addc_u32 s45, s45, 0
	s_and_saveexec_b64 s[0:1], vcc
	s_cbranch_execz .LBB0_23
; %bb.1:
	s_load_dwordx2 s[14:15], s[4:5], 0x0
	s_load_dwordx2 s[12:13], s[4:5], 0x38
	s_movk_i32 s0, 0x6e
	v_mul_lo_u16_sdwa v1, v1, s0 dst_sel:DWORD dst_unused:UNUSED_PAD src0_sel:WORD_1 src1_sel:DWORD
	v_sub_u16_e32 v239, v0, v1
	v_cmp_gt_u16_e64 s[0:1], 60, v239
	v_lshlrev_b32_e32 v237, 4, v239
	s_and_saveexec_b64 s[6:7], s[0:1]
	s_cbranch_execz .LBB0_3
; %bb.2:
	s_load_dwordx2 s[8:9], s[4:5], 0x18
	s_waitcnt lgkmcnt(0)
	v_mov_b32_e32 v28, s15
	s_load_dwordx4 s[8:11], s[8:9], 0x0
	s_waitcnt lgkmcnt(0)
	v_mad_u64_u32 v[0:1], s[16:17], s10, v243, 0
	v_mad_u64_u32 v[2:3], s[16:17], s8, v239, 0
	;; [unrolled: 1-line block ×4, first 2 shown]
	v_mov_b32_e32 v1, v4
	v_lshlrev_b64 v[0:1], 4, v[0:1]
	v_mov_b32_e32 v3, v5
	v_mov_b32_e32 v6, s3
	v_lshlrev_b64 v[2:3], 4, v[2:3]
	v_add_co_u32_e32 v0, vcc, s2, v0
	v_addc_co_u32_e32 v1, vcc, v6, v1, vcc
	v_add_co_u32_e32 v16, vcc, v0, v2
	s_mul_i32 s2, s9, 0x3c0
	s_mul_hi_u32 s3, s8, 0x3c0
	v_addc_co_u32_e32 v17, vcc, v1, v3, vcc
	s_add_i32 s2, s3, s2
	s_mul_i32 s3, s8, 0x3c0
	v_mov_b32_e32 v0, s2
	v_add_co_u32_e32 v18, vcc, s3, v16
	v_addc_co_u32_e32 v19, vcc, v17, v0, vcc
	global_load_dwordx4 v[0:3], v[16:17], off
	global_load_dwordx4 v[4:7], v[18:19], off
	global_load_dwordx4 v[8:11], v237, s[14:15]
	global_load_dwordx4 v[12:15], v237, s[14:15] offset:960
	v_mov_b32_e32 v16, s2
	v_add_co_u32_e32 v52, vcc, s3, v18
	v_addc_co_u32_e32 v53, vcc, v19, v16, vcc
	v_add_co_u32_e32 v78, vcc, s14, v237
	s_movk_i32 s8, 0x1000
	v_addc_co_u32_e32 v79, vcc, 0, v28, vcc
	v_add_co_u32_e32 v44, vcc, s8, v78
	v_addc_co_u32_e32 v45, vcc, 0, v79, vcc
	global_load_dwordx4 v[16:19], v237, s[14:15] offset:1920
	global_load_dwordx4 v[20:23], v237, s[14:15] offset:2880
	;; [unrolled: 1-line block ×3, first 2 shown]
	global_load_dwordx4 v[28:31], v[44:45], off offset:704
	global_load_dwordx4 v[32:35], v[44:45], off offset:1664
	;; [unrolled: 1-line block ×4, first 2 shown]
	v_mov_b32_e32 v44, s2
	v_add_co_u32_e32 v54, vcc, s3, v52
	v_addc_co_u32_e32 v55, vcc, v53, v44, vcc
	global_load_dwordx4 v[44:47], v[52:53], off
	global_load_dwordx4 v[48:51], v[54:55], off
	v_mov_b32_e32 v57, s2
	v_add_co_u32_e32 v56, vcc, s3, v54
	v_addc_co_u32_e32 v57, vcc, v55, v57, vcc
	v_mov_b32_e32 v58, s2
	v_add_co_u32_e32 v60, vcc, s3, v56
	v_addc_co_u32_e32 v61, vcc, v57, v58, vcc
	;; [unrolled: 3-line block ×3, first 2 shown]
	global_load_dwordx4 v[52:55], v[56:57], off
	v_mov_b32_e32 v66, s2
	global_load_dwordx4 v[56:59], v[60:61], off
	v_add_co_u32_e32 v68, vcc, s3, v64
	global_load_dwordx4 v[60:63], v[64:65], off
	v_addc_co_u32_e32 v69, vcc, v65, v66, vcc
	v_mov_b32_e32 v70, s2
	v_add_co_u32_e32 v72, vcc, s3, v68
	v_addc_co_u32_e32 v73, vcc, v69, v70, vcc
	v_mov_b32_e32 v74, s2
	v_add_co_u32_e32 v76, vcc, s3, v72
	v_addc_co_u32_e32 v77, vcc, v73, v74, vcc
	s_movk_i32 s8, 0x2000
	global_load_dwordx4 v[64:67], v[68:69], off
	v_add_co_u32_e32 v88, vcc, s8, v78
	global_load_dwordx4 v[68:71], v[72:73], off
	v_addc_co_u32_e32 v89, vcc, 0, v79, vcc
	global_load_dwordx4 v[72:75], v[76:77], off
	v_mov_b32_e32 v78, s2
	v_add_co_u32_e32 v90, vcc, s3, v76
	v_addc_co_u32_e32 v91, vcc, v77, v78, vcc
	global_load_dwordx4 v[76:79], v[88:89], off offset:448
	global_load_dwordx4 v[80:83], v[90:91], off
	global_load_dwordx4 v[84:87], v[88:89], off offset:1408
	s_waitcnt vmcnt(19)
	v_mul_f64 v[88:89], v[2:3], v[10:11]
	v_mul_f64 v[10:11], v[0:1], v[10:11]
	s_waitcnt vmcnt(18)
	v_mul_f64 v[90:91], v[6:7], v[14:15]
	v_mul_f64 v[14:15], v[4:5], v[14:15]
	v_fma_f64 v[0:1], v[0:1], v[8:9], v[88:89]
	v_fma_f64 v[2:3], v[2:3], v[8:9], -v[10:11]
	v_fma_f64 v[4:5], v[4:5], v[12:13], v[90:91]
	v_fma_f64 v[6:7], v[6:7], v[12:13], -v[14:15]
	ds_write_b128 v237, v[0:3]
	ds_write_b128 v237, v[4:7] offset:960
	s_waitcnt vmcnt(10)
	v_mul_f64 v[88:89], v[46:47], v[18:19]
	v_mul_f64 v[18:19], v[44:45], v[18:19]
	s_waitcnt vmcnt(9)
	v_mul_f64 v[12:13], v[50:51], v[22:23]
	v_mul_f64 v[2:3], v[48:49], v[22:23]
	v_fma_f64 v[8:9], v[44:45], v[16:17], v[88:89]
	v_fma_f64 v[10:11], v[46:47], v[16:17], -v[18:19]
	v_fma_f64 v[0:1], v[48:49], v[20:21], v[12:13]
	v_fma_f64 v[2:3], v[50:51], v[20:21], -v[2:3]
	s_waitcnt vmcnt(8)
	v_mul_f64 v[4:5], v[54:55], v[26:27]
	v_mul_f64 v[6:7], v[52:53], v[26:27]
	s_waitcnt vmcnt(7)
	v_mul_f64 v[12:13], v[58:59], v[30:31]
	v_mul_f64 v[14:15], v[56:57], v[30:31]
	ds_write_b128 v237, v[8:11] offset:1920
	s_waitcnt vmcnt(6)
	v_mul_f64 v[16:17], v[62:63], v[34:35]
	v_mul_f64 v[18:19], v[60:61], v[34:35]
	v_fma_f64 v[4:5], v[52:53], v[24:25], v[4:5]
	v_fma_f64 v[6:7], v[54:55], v[24:25], -v[6:7]
	v_fma_f64 v[8:9], v[56:57], v[28:29], v[12:13]
	v_fma_f64 v[10:11], v[58:59], v[28:29], -v[14:15]
	;; [unrolled: 2-line block ×3, first 2 shown]
	s_waitcnt vmcnt(5)
	v_mul_f64 v[16:17], v[66:67], v[38:39]
	v_mul_f64 v[18:19], v[64:65], v[38:39]
	s_waitcnt vmcnt(4)
	v_mul_f64 v[20:21], v[70:71], v[42:43]
	v_mul_f64 v[22:23], v[68:69], v[42:43]
	v_fma_f64 v[16:17], v[64:65], v[36:37], v[16:17]
	v_fma_f64 v[18:19], v[66:67], v[36:37], -v[18:19]
	s_waitcnt vmcnt(2)
	v_mul_f64 v[24:25], v[74:75], v[78:79]
	v_mul_f64 v[26:27], v[72:73], v[78:79]
	s_waitcnt vmcnt(0)
	v_mul_f64 v[28:29], v[82:83], v[86:87]
	v_mul_f64 v[30:31], v[80:81], v[86:87]
	v_fma_f64 v[20:21], v[68:69], v[40:41], v[20:21]
	v_fma_f64 v[22:23], v[70:71], v[40:41], -v[22:23]
	v_fma_f64 v[24:25], v[72:73], v[76:77], v[24:25]
	v_fma_f64 v[26:27], v[74:75], v[76:77], -v[26:27]
	;; [unrolled: 2-line block ×3, first 2 shown]
	ds_write_b128 v237, v[0:3] offset:2880
	ds_write_b128 v237, v[4:7] offset:3840
	ds_write_b128 v237, v[8:11] offset:4800
	ds_write_b128 v237, v[12:15] offset:5760
	ds_write_b128 v237, v[16:19] offset:6720
	ds_write_b128 v237, v[20:23] offset:7680
	ds_write_b128 v237, v[24:27] offset:8640
	ds_write_b128 v237, v[28:31] offset:9600
.LBB0_3:
	s_or_b64 exec, exec, s[6:7]
	s_load_dwordx2 s[2:3], s[4:5], 0x20
	s_load_dwordx2 s[8:9], s[4:5], 0x8
	s_waitcnt lgkmcnt(0)
	s_barrier
	s_waitcnt lgkmcnt(0)
                                        ; implicit-def: $vgpr4_vgpr5
                                        ; implicit-def: $vgpr8_vgpr9
                                        ; implicit-def: $vgpr12_vgpr13
                                        ; implicit-def: $vgpr16_vgpr17
                                        ; implicit-def: $vgpr20_vgpr21
                                        ; implicit-def: $vgpr24_vgpr25
                                        ; implicit-def: $vgpr28_vgpr29
                                        ; implicit-def: $vgpr32_vgpr33
                                        ; implicit-def: $vgpr36_vgpr37
                                        ; implicit-def: $vgpr40_vgpr41
                                        ; implicit-def: $vgpr44_vgpr45
	s_and_saveexec_b64 s[4:5], s[0:1]
	s_cbranch_execz .LBB0_5
; %bb.4:
	ds_read_b128 v[4:7], v237
	ds_read_b128 v[8:11], v237 offset:960
	ds_read_b128 v[12:15], v237 offset:1920
	;; [unrolled: 1-line block ×10, first 2 shown]
.LBB0_5:
	s_or_b64 exec, exec, s[4:5]
	s_waitcnt lgkmcnt(0)
	v_add_f64 v[60:61], v[10:11], -v[46:47]
	s_mov_b32 s10, 0xf8bb580b
	s_mov_b32 s11, 0xbfe14ced
	v_add_f64 v[84:85], v[8:9], v[44:45]
	v_add_f64 v[64:65], v[14:15], -v[42:43]
	s_mov_b32 s6, 0x8764f0ba
	s_mov_b32 s7, 0x3feaeb8c
	;; [unrolled: 1-line block ×3, first 2 shown]
	v_mul_f64 v[48:49], v[60:61], s[10:11]
	s_mov_b32 s18, 0x8eee2c13
	v_add_f64 v[62:63], v[8:9], -v[44:45]
	v_add_f64 v[98:99], v[12:13], v[40:41]
	v_mul_f64 v[50:51], v[64:65], s[18:19]
	s_mov_b32 s4, 0xd9c712b6
	s_mov_b32 s5, 0x3fda9628
	v_add_f64 v[86:87], v[10:11], v[46:47]
	v_fma_f64 v[0:1], v[84:85], s[6:7], v[48:49]
	v_add_f64 v[66:67], v[12:13], -v[40:41]
	v_mul_f64 v[52:53], v[62:63], s[10:11]
	v_add_f64 v[68:69], v[18:19], -v[38:39]
	v_fma_f64 v[70:71], v[98:99], s[4:5], v[50:51]
	s_mov_b32 s22, 0x43842ef
	s_mov_b32 s23, 0xbfefac9e
	v_add_f64 v[100:101], v[14:15], v[42:43]
	v_add_f64 v[0:1], v[4:5], v[0:1]
	v_mul_f64 v[54:55], v[66:67], s[18:19]
	v_fma_f64 v[2:3], v[86:87], s[6:7], -v[52:53]
	v_add_f64 v[123:124], v[16:17], v[36:37]
	v_mul_f64 v[56:57], v[68:69], s[22:23]
	s_mov_b32 s16, 0x640f44db
	s_mov_b32 s26, 0xbb3a28a1
	;; [unrolled: 1-line block ×3, first 2 shown]
	v_add_f64 v[0:1], v[70:71], v[0:1]
	v_add_f64 v[70:71], v[22:23], -v[34:35]
	s_mov_b32 s27, 0xbfe82f19
	v_add_f64 v[72:73], v[16:17], -v[36:37]
	v_fma_f64 v[74:75], v[100:101], s[4:5], -v[54:55]
	v_add_f64 v[2:3], v[6:7], v[2:3]
	v_fma_f64 v[80:81], v[123:124], s[16:17], v[56:57]
	v_add_f64 v[137:138], v[20:21], v[32:33]
	s_mov_b32 s20, 0x7f775887
	v_mul_f64 v[76:77], v[70:71], s[26:27]
	s_mov_b32 s21, 0xbfe4f49e
	v_add_f64 v[125:126], v[18:19], v[38:39]
	v_mul_f64 v[58:59], v[72:73], s[22:23]
	v_add_f64 v[2:3], v[74:75], v[2:3]
	v_add_f64 v[74:75], v[20:21], -v[32:33]
	v_add_f64 v[0:1], v[80:81], v[0:1]
	v_add_f64 v[165:166], v[26:27], -v[30:31]
	v_fma_f64 v[90:91], v[137:138], s[20:21], v[76:77]
	v_mul_f64 v[88:89], v[60:61], s[18:19]
	s_mov_b32 s28, 0xfd768dbf
	s_mov_b32 s29, 0xbfd207e7
	v_fma_f64 v[82:83], v[125:126], s[16:17], -v[58:59]
	v_add_f64 v[135:136], v[22:23], v[34:35]
	v_mul_f64 v[78:79], v[74:75], s[26:27]
	v_add_f64 v[177:178], v[24:25], -v[28:29]
	v_add_f64 v[129:130], v[24:25], v[28:29]
	v_mul_f64 v[80:81], v[165:166], s[28:29]
	v_add_f64 v[0:1], v[90:91], v[0:1]
	v_fma_f64 v[94:95], v[84:85], s[4:5], v[88:89]
	v_mul_f64 v[90:91], v[64:65], s[26:27]
	v_mul_f64 v[114:115], v[62:63], s[18:19]
	s_mov_b32 s24, 0x9bcd5057
	s_mov_b32 s25, 0xbfeeb42a
	v_add_f64 v[2:3], v[82:83], v[2:3]
	v_fma_f64 v[92:93], v[135:136], s[20:21], -v[78:79]
	v_add_f64 v[139:140], v[26:27], v[30:31]
	v_mul_f64 v[82:83], v[177:178], s[28:29]
	v_fma_f64 v[102:103], v[129:130], s[24:25], v[80:81]
	v_add_f64 v[94:95], v[4:5], v[94:95]
	v_fma_f64 v[106:107], v[98:99], s[20:21], v[90:91]
	v_fma_f64 v[108:109], v[86:87], s[4:5], -v[114:115]
	v_mul_f64 v[96:97], v[66:67], s[26:27]
	s_mov_b32 s31, 0x3fd207e7
	s_mov_b32 s30, s28
	v_add_f64 v[2:3], v[92:93], v[2:3]
	v_fma_f64 v[104:105], v[139:140], s[24:25], -v[82:83]
	v_mul_f64 v[92:93], v[68:69], s[30:31]
	v_add_f64 v[0:1], v[102:103], v[0:1]
	v_add_f64 v[102:103], v[106:107], v[94:95]
	;; [unrolled: 1-line block ×3, first 2 shown]
	v_fma_f64 v[110:111], v[100:101], s[20:21], -v[96:97]
	v_mul_f64 v[106:107], v[60:61], s[22:23]
	v_mul_f64 v[141:142], v[62:63], s[22:23]
	s_mov_b32 s35, 0x3fefac9e
	s_mov_b32 s34, s22
	v_add_f64 v[2:3], v[104:105], v[2:3]
	v_fma_f64 v[112:113], v[123:124], s[24:25], v[92:93]
	v_mul_f64 v[104:105], v[72:73], s[30:31]
	v_mul_f64 v[94:95], v[70:71], s[34:35]
	v_add_f64 v[117:118], v[110:111], v[108:109]
	v_fma_f64 v[119:120], v[84:85], s[16:17], v[106:107]
	v_mul_f64 v[110:111], v[64:65], s[30:31]
	v_fma_f64 v[121:122], v[86:87], s[16:17], -v[141:142]
	v_mul_f64 v[143:144], v[66:67], s[30:31]
	s_mov_b32 s19, 0x3fed1bb4
	v_add_f64 v[102:103], v[112:113], v[102:103]
	v_fma_f64 v[127:128], v[125:126], s[24:25], -v[104:105]
	v_fma_f64 v[131:132], v[137:138], s[16:17], v[94:95]
	v_mul_f64 v[108:109], v[74:75], s[34:35]
	v_add_f64 v[119:120], v[4:5], v[119:120]
	v_fma_f64 v[133:134], v[98:99], s[24:25], v[110:111]
	v_add_f64 v[145:146], v[6:7], v[121:122]
	v_fma_f64 v[147:148], v[100:101], s[24:25], -v[143:144]
	v_mul_f64 v[112:113], v[68:69], s[18:19]
	v_mul_f64 v[121:122], v[72:73], s[18:19]
	v_add_f64 v[149:150], v[127:128], v[117:118]
	v_add_f64 v[185:186], v[131:132], v[102:103]
	v_fma_f64 v[131:132], v[135:136], s[16:17], -v[108:109]
	v_add_f64 v[133:134], v[133:134], v[119:120]
	v_mul_f64 v[117:118], v[70:71], s[10:11]
	v_add_f64 v[145:146], v[147:148], v[145:146]
	v_fma_f64 v[147:148], v[123:124], s[4:5], v[112:113]
	v_fma_f64 v[151:152], v[125:126], s[4:5], -v[121:122]
	v_mul_f64 v[127:128], v[74:75], s[10:11]
	v_mul_f64 v[159:160], v[60:61], s[28:29]
	v_add_f64 v[187:188], v[131:132], v[149:150]
	v_mul_f64 v[149:150], v[62:63], s[26:27]
	v_fma_f64 v[153:154], v[137:138], s[6:7], v[117:118]
	v_mul_f64 v[181:182], v[62:63], s[28:29]
	v_add_f64 v[147:148], v[147:148], v[133:134]
	v_add_f64 v[151:152], v[151:152], v[145:146]
	v_mul_f64 v[145:146], v[60:61], s[26:27]
	v_fma_f64 v[155:156], v[135:136], s[6:7], -v[127:128]
	s_mov_b32 s31, 0x3fe14ced
	s_mov_b32 s30, s10
	v_mul_f64 v[161:162], v[72:73], s[10:11]
	v_fma_f64 v[163:164], v[84:85], s[24:25], v[159:160]
	v_add_f64 v[193:194], v[153:154], v[147:148]
	v_mul_f64 v[147:148], v[64:65], s[34:35]
	v_fma_f64 v[153:154], v[84:85], s[20:21], v[145:146]
	v_add_f64 v[195:196], v[155:156], v[151:152]
	v_fma_f64 v[155:156], v[86:87], s[20:21], -v[149:150]
	v_mul_f64 v[151:152], v[66:67], s[34:35]
	v_mul_f64 v[167:168], v[64:65], s[30:31]
	v_fma_f64 v[64:65], v[86:87], s[24:25], -v[181:182]
	v_mul_f64 v[183:184], v[66:67], s[30:31]
	v_fma_f64 v[62:63], v[98:99], s[16:17], v[147:148]
	v_add_f64 v[60:61], v[4:5], v[153:154]
	v_mul_f64 v[153:154], v[68:69], s[10:11]
	v_add_f64 v[155:156], v[6:7], v[155:156]
	v_fma_f64 v[157:158], v[100:101], s[16:17], -v[151:152]
	v_fma_f64 v[171:172], v[98:99], s[6:7], v[167:168]
	v_add_f64 v[64:65], v[6:7], v[64:65]
	v_fma_f64 v[173:174], v[100:101], s[6:7], -v[183:184]
	v_mul_f64 v[179:180], v[72:73], s[26:27]
	v_add_f64 v[60:61], v[62:63], v[60:61]
	v_fma_f64 v[66:67], v[123:124], s[6:7], v[153:154]
	v_mul_f64 v[169:170], v[74:75], s[28:29]
	v_add_f64 v[62:63], v[157:158], v[155:156]
	v_fma_f64 v[155:156], v[125:126], s[6:7], -v[161:162]
	v_add_f64 v[157:158], v[4:5], v[163:164]
	v_mul_f64 v[163:164], v[68:69], s[26:27]
	v_add_f64 v[64:65], v[173:174], v[64:65]
	v_fma_f64 v[72:73], v[125:126], s[20:21], -v[179:180]
	v_add_f64 v[60:61], v[66:67], v[60:61]
	v_mul_f64 v[175:176], v[74:75], s[18:19]
	v_mul_f64 v[102:103], v[165:166], s[30:31]
	v_add_f64 v[62:63], v[155:156], v[62:63]
	v_mul_f64 v[155:156], v[70:71], s[28:29]
	v_add_f64 v[66:67], v[171:172], v[157:158]
	v_fma_f64 v[68:69], v[123:124], s[20:21], v[163:164]
	v_mul_f64 v[171:172], v[70:71], s[18:19]
	v_mul_f64 v[119:120], v[177:178], s[30:31]
	;; [unrolled: 1-line block ×4, first 2 shown]
	v_fma_f64 v[74:75], v[135:136], s[24:25], -v[169:170]
	v_fma_f64 v[70:71], v[137:138], s[24:25], v[155:156]
	v_mul_f64 v[157:158], v[165:166], s[18:19]
	v_mul_f64 v[173:174], v[177:178], s[18:19]
	v_add_f64 v[66:67], v[68:69], v[66:67]
	v_add_f64 v[64:65], v[72:73], v[64:65]
	v_fma_f64 v[68:69], v[137:138], s[4:5], v[171:172]
	v_fma_f64 v[72:73], v[135:136], s[4:5], -v[175:176]
	v_mul_f64 v[165:166], v[165:166], s[22:23]
	v_mul_f64 v[177:178], v[177:178], s[22:23]
	v_fma_f64 v[189:190], v[129:130], s[6:7], v[102:103]
	v_fma_f64 v[191:192], v[139:140], s[6:7], -v[119:120]
	v_fma_f64 v[197:198], v[129:130], s[20:21], v[131:132]
	v_fma_f64 v[199:200], v[139:140], s[20:21], -v[133:134]
	v_add_f64 v[60:61], v[70:71], v[60:61]
	v_add_f64 v[62:63], v[74:75], v[62:63]
	v_fma_f64 v[201:202], v[129:130], s[4:5], v[157:158]
	v_fma_f64 v[203:204], v[139:140], s[4:5], -v[173:174]
	v_add_f64 v[205:206], v[68:69], v[66:67]
	v_add_f64 v[207:208], v[72:73], v[64:65]
	;; [unrolled: 4-line block ×3, first 2 shown]
	v_add_f64 v[68:69], v[197:198], v[193:194]
	v_add_f64 v[70:71], v[199:200], v[195:196]
	;; [unrolled: 1-line block ×6, first 2 shown]
	v_mul_lo_u16_e32 v238, 11, v239
	buffer_store_dword v0, off, s[44:47], 0 ; 4-byte Folded Spill
	s_nop 0
	buffer_store_dword v1, off, s[44:47], 0 offset:4 ; 4-byte Folded Spill
	buffer_store_dword v2, off, s[44:47], 0 offset:8 ; 4-byte Folded Spill
	;; [unrolled: 1-line block ×3, first 2 shown]
	s_waitcnt vmcnt(0)
	s_barrier
	s_and_saveexec_b64 s[10:11], s[0:1]
	s_cbranch_execz .LBB0_7
; %bb.6:
	v_mul_f64 v[187:188], v[86:87], s[6:7]
	v_mul_f64 v[191:192], v[86:87], s[4:5]
	;; [unrolled: 1-line block ×15, first 2 shown]
	v_add_f64 v[86:87], v[181:182], v[86:87]
	v_add_f64 v[149:150], v[149:150], v[199:200]
	;; [unrolled: 1-line block ×4, first 2 shown]
	v_mul_f64 v[201:202], v[98:99], s[4:5]
	v_mul_f64 v[205:206], v[98:99], s[20:21]
	;; [unrolled: 1-line block ×10, first 2 shown]
	v_add_f64 v[100:101], v[183:184], v[100:101]
	v_add_f64 v[86:87], v[6:7], v[86:87]
	v_add_f64 v[84:85], v[84:85], -v[159:160]
	v_add_f64 v[151:152], v[151:152], v[215:216]
	v_add_f64 v[149:150], v[6:7], v[149:150]
	;; [unrolled: 1-line block ×4, first 2 shown]
	v_mul_f64 v[217:218], v[123:124], s[16:17]
	v_mul_f64 v[221:222], v[123:124], s[24:25]
	;; [unrolled: 1-line block ×6, first 2 shown]
	v_mov_b32_e32 v116, v243
	v_mul_f64 v[242:243], v[135:136], s[16:17]
	v_mul_f64 v[246:247], v[135:136], s[6:7]
	;; [unrolled: 1-line block ×4, first 2 shown]
	v_add_f64 v[125:126], v[179:180], v[125:126]
	v_add_f64 v[86:87], v[100:101], v[86:87]
	v_add_f64 v[98:99], v[98:99], -v[167:168]
	v_add_f64 v[84:85], v[4:5], v[84:85]
	v_add_f64 v[161:162], v[161:162], v[231:232]
	v_add_f64 v[145:146], v[197:198], -v[145:146]
	v_add_f64 v[149:150], v[151:152], v[149:150]
	v_add_f64 v[10:11], v[10:11], v[18:19]
	;; [unrolled: 1-line block ×3, first 2 shown]
	v_mul_f64 v[233:234], v[137:138], s[20:21]
	v_mul_f64 v[240:241], v[137:138], s[16:17]
	v_mul_f64 v[244:245], v[137:138], s[6:7]
	v_mul_f64 v[248:249], v[137:138], s[24:25]
	v_mul_f64 v[137:138], v[137:138], s[4:5]
	v_mul_f64 v[252:253], v[139:140], s[24:25]
	v_mul_f64 v[199:200], v[139:140], s[6:7]
	v_mul_f64 v[159:160], v[139:140], s[20:21]
	v_mul_f64 v[215:216], v[139:140], s[4:5]
	v_mul_f64 v[139:140], v[139:140], s[16:17]
	v_add_f64 v[135:136], v[175:176], v[135:136]
	v_add_f64 v[86:87], v[125:126], v[86:87]
	v_add_f64 v[123:124], v[123:124], -v[163:164]
	v_add_f64 v[84:85], v[98:99], v[84:85]
	v_add_f64 v[98:99], v[169:170], v[250:251]
	v_add_f64 v[125:126], v[213:214], -v[147:148]
	v_add_f64 v[145:146], v[4:5], v[145:146]
	v_add_f64 v[147:148], v[161:162], v[149:150]
	;; [unrolled: 1-line block ×4, first 2 shown]
	v_mul_f64 v[100:101], v[129:130], s[16:17]
	v_add_f64 v[139:140], v[177:178], v[139:140]
	v_add_f64 v[86:87], v[135:136], v[86:87]
	v_add_f64 v[135:136], v[137:138], -v[171:172]
	v_add_f64 v[123:124], v[123:124], v[84:85]
	v_add_f64 v[137:138], v[173:174], v[215:216]
	v_add_f64 v[149:150], v[229:230], -v[153:154]
	v_add_f64 v[125:126], v[125:126], v[145:146]
	v_add_f64 v[98:99], v[98:99], v[147:148]
	;; [unrolled: 1-line block ×7, first 2 shown]
	v_add_f64 v[24:25], v[185:186], -v[48:49]
	v_add_f64 v[106:107], v[193:194], -v[106:107]
	;; [unrolled: 1-line block ×3, first 2 shown]
	v_add_f64 v[84:85], v[139:140], v[86:87]
	v_add_f64 v[86:87], v[100:101], -v[165:166]
	v_add_f64 v[100:101], v[135:136], v[123:124]
	v_add_f64 v[123:124], v[248:249], -v[155:156]
	v_add_f64 v[125:126], v[149:150], v[125:126]
	v_add_f64 v[98:99], v[137:138], v[98:99]
	;; [unrolled: 1-line block ×10, first 2 shown]
	v_add_f64 v[50:51], v[201:202], -v[50:51]
	v_add_f64 v[24:25], v[4:5], v[24:25]
	v_add_f64 v[106:107], v[4:5], v[106:107]
	v_add_f64 v[48:49], v[205:206], -v[90:91]
	v_add_f64 v[4:5], v[4:5], v[26:27]
	v_add_f64 v[14:15], v[209:210], -v[110:111]
	v_add_f64 v[123:124], v[123:124], v[125:126]
	v_add_f64 v[121:122], v[121:122], v[227:228]
	;; [unrolled: 1-line block ×9, first 2 shown]
	v_add_f64 v[30:31], v[217:218], -v[56:57]
	v_add_f64 v[24:25], v[50:51], v[24:25]
	v_add_f64 v[26:27], v[221:222], -v[92:93]
	v_add_f64 v[4:5], v[48:49], v[4:5]
	;; [unrolled: 2-line block ×3, first 2 shown]
	v_add_f64 v[12:13], v[127:128], v[246:247]
	v_add_f64 v[110:111], v[121:122], v[125:126]
	;; [unrolled: 1-line block ×6, first 2 shown]
	v_mul_f64 v[181:182], v[129:130], s[24:25]
	v_add_f64 v[34:35], v[78:79], v[235:236]
	v_add_f64 v[6:7], v[28:29], v[6:7]
	v_add_f64 v[28:29], v[233:234], -v[76:77]
	v_add_f64 v[24:25], v[30:31], v[24:25]
	v_mul_f64 v[183:184], v[129:130], s[6:7]
	v_add_f64 v[32:33], v[240:241], -v[94:95]
	v_add_f64 v[4:5], v[26:27], v[4:5]
	v_mul_f64 v[179:180], v[129:130], s[20:21]
	;; [unrolled: 3-line block ×3, first 2 shown]
	v_add_f64 v[16:17], v[133:134], v[159:160]
	v_add_f64 v[12:13], v[12:13], v[110:111]
	;; [unrolled: 1-line block ×8, first 2 shown]
	v_add_f64 v[36:37], v[181:182], -v[80:81]
	v_add_f64 v[24:25], v[28:29], v[24:25]
	v_add_f64 v[26:27], v[183:184], -v[102:103]
	v_add_f64 v[4:5], v[32:33], v[4:5]
	;; [unrolled: 2-line block ×4, first 2 shown]
	v_add_f64 v[10:11], v[18:19], v[96:97]
	v_add_f64 v[18:19], v[38:39], v[46:47]
	;; [unrolled: 1-line block ×9, first 2 shown]
	v_lshlrev_b32_e32 v20, 4, v238
	ds_write_b128 v20, v[16:19]
	ds_write_b128 v20, v[12:15] offset:16
	ds_write_b128 v20, v[8:11] offset:32
	;; [unrolled: 1-line block ×9, first 2 shown]
	buffer_load_dword v0, off, s[44:47], 0  ; 4-byte Folded Reload
	buffer_load_dword v1, off, s[44:47], 0 offset:4 ; 4-byte Folded Reload
	buffer_load_dword v2, off, s[44:47], 0 offset:8 ; 4-byte Folded Reload
	;; [unrolled: 1-line block ×3, first 2 shown]
	v_mov_b32_e32 v243, v116
	s_waitcnt vmcnt(0)
	ds_write_b128 v20, v[0:3] offset:160
.LBB0_7:
	s_or_b64 exec, exec, s[10:11]
	s_load_dwordx4 s[4:7], s[2:3], 0x0
	s_movk_i32 s2, 0x75
	v_mul_lo_u16_sdwa v4, v239, s2 dst_sel:DWORD dst_unused:UNUSED_PAD src0_sel:BYTE_0 src1_sel:DWORD
	v_sub_u16_sdwa v5, v239, v4 dst_sel:DWORD dst_unused:UNUSED_PAD src0_sel:DWORD src1_sel:BYTE_1
	v_lshrrev_b16_e32 v5, 1, v5
	v_and_b32_e32 v5, 0x7f, v5
	v_add_u16_sdwa v4, v5, v4 dst_sel:DWORD dst_unused:UNUSED_PAD src0_sel:DWORD src1_sel:BYTE_1
	v_lshrrev_b16_e32 v48, 3, v4
	v_mul_lo_u16_e32 v4, 11, v48
	v_sub_u16_e32 v4, v239, v4
	v_and_b32_e32 v49, 0xff, v4
	v_mov_b32_e32 v4, s8
	s_movk_i32 s2, 0x50
	v_mov_b32_e32 v5, s9
	v_mad_u64_u32 v[12:13], s[2:3], v49, s2, v[4:5]
	s_waitcnt lgkmcnt(0)
	s_barrier
	global_load_dwordx4 v[4:7], v[12:13], off
	global_load_dwordx4 v[16:19], v[12:13], off offset:16
	global_load_dwordx4 v[8:11], v[12:13], off offset:32
	;; [unrolled: 1-line block ×4, first 2 shown]
	ds_read_b128 v[12:15], v237
	ds_read_b128 v[20:23], v237 offset:1760
	ds_read_b128 v[32:35], v237 offset:3520
	;; [unrolled: 1-line block ×5, first 2 shown]
	v_mul_u32_u24_e32 v48, 0x42, v48
	v_add_lshl_u32 v255, v48, v49, 4
	s_waitcnt lgkmcnt(0)
	s_mov_b32 s2, 0xe8584caa
	s_mov_b32 s3, 0x3febb67a
	;; [unrolled: 1-line block ×4, first 2 shown]
	s_movk_i32 s16, 0x42
	s_waitcnt vmcnt(4)
	v_mul_f64 v[48:49], v[22:23], v[6:7]
	v_mul_f64 v[50:51], v[20:21], v[6:7]
	s_waitcnt vmcnt(2)
	v_mul_f64 v[54:55], v[38:39], v[10:11]
	v_mul_f64 v[56:57], v[36:37], v[10:11]
	;; [unrolled: 3-line block ×3, first 2 shown]
	v_mul_f64 v[52:53], v[34:35], v[18:19]
	v_mul_f64 v[78:79], v[32:33], v[18:19]
	v_fma_f64 v[20:21], v[20:21], v[4:5], -v[48:49]
	buffer_store_dword v4, off, s[44:47], 0 offset:16 ; 4-byte Folded Spill
	s_nop 0
	buffer_store_dword v5, off, s[44:47], 0 offset:20 ; 4-byte Folded Spill
	buffer_store_dword v6, off, s[44:47], 0 offset:24 ; 4-byte Folded Spill
	;; [unrolled: 1-line block ×3, first 2 shown]
	v_fma_f64 v[36:37], v[36:37], v[8:9], -v[54:55]
	v_fma_f64 v[38:39], v[38:39], v[8:9], v[56:57]
	v_fma_f64 v[46:47], v[46:47], v[24:25], v[58:59]
	v_fma_f64 v[44:45], v[44:45], v[24:25], -v[76:77]
	s_waitcnt vmcnt(4)
	v_mul_f64 v[80:81], v[42:43], v[30:31]
	v_mul_f64 v[82:83], v[40:41], v[30:31]
	v_fma_f64 v[32:33], v[32:33], v[16:17], -v[52:53]
	v_fma_f64 v[34:35], v[34:35], v[16:17], v[78:79]
	s_waitcnt vmcnt(0)
	s_barrier
	v_add_f64 v[48:49], v[38:39], v[46:47]
	v_add_f64 v[76:77], v[38:39], -v[46:47]
	v_fma_f64 v[40:41], v[40:41], v[28:29], -v[80:81]
	v_fma_f64 v[42:43], v[42:43], v[28:29], v[82:83]
	v_add_f64 v[52:53], v[12:13], v[32:33]
	v_add_f64 v[78:79], v[36:37], -v[44:45]
	v_add_f64 v[58:59], v[14:15], v[34:35]
	v_add_f64 v[54:55], v[32:33], v[40:41]
	v_add_f64 v[56:57], v[34:35], -v[42:43]
	v_add_f64 v[34:35], v[34:35], v[42:43]
	v_add_f64 v[32:33], v[32:33], -v[40:41]
	v_add_f64 v[42:43], v[58:59], v[42:43]
	v_fma_f64 v[12:13], v[54:55], -0.5, v[12:13]
	v_fma_f64 v[14:15], v[34:35], -0.5, v[14:15]
	v_fma_f64 v[54:55], v[56:57], s[2:3], v[12:13]
	v_fma_f64 v[12:13], v[56:57], s[10:11], v[12:13]
	;; [unrolled: 1-line block ×5, first 2 shown]
	v_add_f64 v[50:51], v[36:37], v[44:45]
	v_fma_f64 v[48:49], v[48:49], -0.5, v[22:23]
	v_fma_f64 v[50:51], v[50:51], -0.5, v[20:21]
	v_add_f64 v[20:21], v[20:21], v[36:37]
	v_add_f64 v[22:23], v[22:23], v[38:39]
	;; [unrolled: 1-line block ×3, first 2 shown]
	v_fma_f64 v[38:39], v[78:79], s[10:11], v[48:49]
	v_fma_f64 v[40:41], v[76:77], s[10:11], v[50:51]
	;; [unrolled: 1-line block ×4, first 2 shown]
	v_add_f64 v[20:21], v[20:21], v[44:45]
	v_add_f64 v[22:23], v[22:23], v[46:47]
	v_mul_f64 v[34:35], v[38:39], s[2:3]
	v_mul_f64 v[44:45], v[40:41], -0.5
	v_mul_f64 v[46:47], v[50:51], s[10:11]
	v_mul_f64 v[52:53], v[48:49], -0.5
	v_add_f64 v[76:77], v[36:37], v[20:21]
	v_add_f64 v[78:79], v[42:43], v[22:23]
	v_add_f64 v[88:89], v[36:37], -v[20:21]
	v_add_f64 v[90:91], v[42:43], -v[22:23]
	v_fma_f64 v[32:33], v[50:51], 0.5, v[34:35]
	v_fma_f64 v[34:35], v[48:49], s[2:3], v[44:45]
	v_fma_f64 v[38:39], v[38:39], 0.5, v[46:47]
	v_fma_f64 v[40:41], v[40:41], s[10:11], v[52:53]
	v_cmp_gt_u16_e64 s[2:3], s16, v239
	v_add_f64 v[80:81], v[54:55], v[32:33]
	v_add_f64 v[84:85], v[12:13], v[34:35]
	;; [unrolled: 1-line block ×4, first 2 shown]
	v_add_f64 v[92:93], v[54:55], -v[32:33]
	v_add_f64 v[96:97], v[12:13], -v[34:35]
	v_add_f64 v[94:95], v[56:57], -v[38:39]
	v_add_f64 v[98:99], v[14:15], -v[40:41]
	ds_write_b128 v255, v[76:79]
	ds_write_b128 v255, v[88:91] offset:528
	ds_write_b128 v255, v[80:83] offset:176
	;; [unrolled: 1-line block ×5, first 2 shown]
	s_waitcnt lgkmcnt(0)
	s_barrier
	s_and_saveexec_b64 s[10:11], s[2:3]
	s_cbranch_execz .LBB0_9
; %bb.8:
	ds_read_b128 v[76:79], v237
	ds_read_b128 v[80:83], v237 offset:1056
	ds_read_b128 v[84:87], v237 offset:2112
	;; [unrolled: 1-line block ×9, first 2 shown]
.LBB0_9:
	s_or_b64 exec, exec, s[10:11]
	v_add_u32_e32 v12, 0xffffffbe, v239
	v_cndmask_b32_e64 v12, v12, v239, s[2:3]
	v_mul_hi_i32_i24_e32 v13, 0x90, v12
	v_mul_i32_i24_e32 v12, 0x90, v12
	v_mov_b32_e32 v14, s9
	v_add_co_u32_e32 v100, vcc, s8, v12
	v_addc_co_u32_e32 v101, vcc, v14, v13, vcc
	global_load_dwordx4 v[244:247], v[100:101], off offset:880
	global_load_dwordx4 v[36:39], v[100:101], off offset:896
	;; [unrolled: 1-line block ×9, first 2 shown]
	s_mov_b32 s8, 0x134454ff
	s_mov_b32 s9, 0x3fee6f0e
	;; [unrolled: 1-line block ×12, first 2 shown]
	s_waitcnt vmcnt(8) lgkmcnt(8)
	v_mul_f64 v[100:101], v[82:83], v[246:247]
	s_waitcnt vmcnt(7) lgkmcnt(7)
	v_mul_f64 v[104:105], v[86:87], v[38:39]
	v_mul_f64 v[106:107], v[84:85], v[38:39]
	s_waitcnt vmcnt(5) lgkmcnt(5)
	v_mul_f64 v[112:113], v[94:95], v[22:23]
	s_waitcnt vmcnt(4) lgkmcnt(4)
	;; [unrolled: 2-line block ×5, first 2 shown]
	v_mul_f64 v[131:132], v[68:69], v[50:51]
	v_mul_f64 v[119:120], v[96:97], v[34:35]
	;; [unrolled: 1-line block ×5, first 2 shown]
	v_fma_f64 v[96:97], v[96:97], v[32:33], -v[117:118]
	buffer_store_dword v32, off, s[44:47], 0 offset:48 ; 4-byte Folded Spill
	s_nop 0
	buffer_store_dword v33, off, s[44:47], 0 offset:52 ; 4-byte Folded Spill
	buffer_store_dword v34, off, s[44:47], 0 offset:56 ; 4-byte Folded Spill
	;; [unrolled: 1-line block ×3, first 2 shown]
	v_fma_f64 v[60:61], v[60:61], v[40:41], -v[121:122]
	buffer_store_dword v40, off, s[44:47], 0 offset:64 ; 4-byte Folded Spill
	s_nop 0
	buffer_store_dword v41, off, s[44:47], 0 offset:68 ; 4-byte Folded Spill
	buffer_store_dword v42, off, s[44:47], 0 offset:72 ; 4-byte Folded Spill
	;; [unrolled: 1-line block ×3, first 2 shown]
	v_fma_f64 v[70:71], v[70:71], v[48:49], v[131:132]
	v_fma_f64 v[64:65], v[64:65], v[12:13], -v[125:126]
	buffer_store_dword v12, off, s[44:47], 0 offset:32 ; 4-byte Folded Spill
	s_nop 0
	buffer_store_dword v13, off, s[44:47], 0 offset:36 ; 4-byte Folded Spill
	buffer_store_dword v14, off, s[44:47], 0 offset:40 ; 4-byte Folded Spill
	;; [unrolled: 1-line block ×4, first 2 shown]
	s_nop 0
	buffer_store_dword v49, off, s[44:47], 0 offset:100 ; 4-byte Folded Spill
	buffer_store_dword v50, off, s[44:47], 0 offset:104 ; 4-byte Folded Spill
	;; [unrolled: 1-line block ×3, first 2 shown]
	s_waitcnt vmcnt(16) lgkmcnt(0)
	v_mul_f64 v[133:134], v[74:75], v[46:47]
	v_mul_f64 v[135:136], v[72:73], v[46:47]
	;; [unrolled: 1-line block ×6, first 2 shown]
	v_fma_f64 v[84:85], v[84:85], v[36:37], -v[104:105]
	v_fma_f64 v[86:87], v[86:87], v[36:37], v[106:107]
	v_fma_f64 v[72:73], v[72:73], v[44:45], -v[133:134]
	buffer_store_dword v44, off, s[44:47], 0 offset:80 ; 4-byte Folded Spill
	s_nop 0
	buffer_store_dword v45, off, s[44:47], 0 offset:84 ; 4-byte Folded Spill
	buffer_store_dword v46, off, s[44:47], 0 offset:88 ; 4-byte Folded Spill
	;; [unrolled: 1-line block ×3, first 2 shown]
	v_fma_f64 v[92:93], v[92:93], v[20:21], -v[112:113]
	v_fma_f64 v[94:95], v[94:95], v[20:21], v[114:115]
	v_fma_f64 v[80:81], v[80:81], v[244:245], -v[100:101]
	v_fma_f64 v[82:83], v[82:83], v[244:245], v[102:103]
	;; [unrolled: 2-line block ×3, first 2 shown]
	v_add_f64 v[100:101], v[76:77], v[84:85]
	v_add_f64 v[104:105], v[86:87], -v[70:71]
	v_add_f64 v[102:103], v[92:93], v[60:61]
	v_add_f64 v[108:109], v[84:85], -v[92:93]
	v_add_f64 v[114:115], v[92:93], -v[84:85]
	;; [unrolled: 1-line block ×3, first 2 shown]
	v_add_f64 v[133:134], v[80:81], v[88:89]
	v_add_f64 v[141:142], v[88:89], -v[96:97]
	v_add_f64 v[143:144], v[72:73], -v[64:65]
	v_add_f64 v[145:146], v[88:89], v[72:73]
	v_fma_f64 v[98:99], v[98:99], v[32:33], v[119:120]
	v_add_f64 v[119:120], v[78:79], v[86:87]
	v_fma_f64 v[62:63], v[62:63], v[40:41], v[123:124]
	v_add_f64 v[123:124], v[92:93], -v[60:61]
	v_add_f64 v[92:93], v[100:101], v[92:93]
	v_fma_f64 v[66:67], v[66:67], v[12:13], v[127:128]
	v_fma_f64 v[68:69], v[68:69], v[48:49], -v[129:130]
	v_add_f64 v[129:130], v[86:87], v[70:71]
	v_add_f64 v[86:87], v[94:95], -v[86:87]
	v_fma_f64 v[100:101], v[102:103], -0.5, v[76:77]
	v_add_f64 v[121:122], v[94:95], v[62:63]
	v_add_f64 v[106:107], v[94:95], -v[62:63]
	v_add_f64 v[127:128], v[70:71], -v[62:63]
	v_add_f64 v[94:95], v[119:120], v[94:95]
	v_add_f64 v[110:111], v[68:69], -v[60:61]
	v_add_f64 v[112:113], v[84:85], v[68:69]
	v_fma_f64 v[74:75], v[74:75], v[44:45], v[135:136]
	v_add_f64 v[117:118], v[60:61], -v[68:69]
	v_add_f64 v[84:85], v[84:85], -v[68:69]
	v_add_f64 v[135:136], v[96:97], v[64:65]
	v_add_f64 v[131:132], v[62:63], -v[70:71]
	v_add_f64 v[60:61], v[92:93], v[60:61]
	v_add_f64 v[102:103], v[108:109], v[110:111]
	v_fma_f64 v[76:77], v[112:113], -0.5, v[76:77]
	v_fma_f64 v[110:111], v[121:122], -0.5, v[78:79]
	v_fma_f64 v[78:79], v[129:130], -0.5, v[78:79]
	v_add_f64 v[137:138], v[90:91], -v[74:75]
	v_add_f64 v[108:109], v[114:115], v[117:118]
	v_add_f64 v[112:113], v[125:126], v[127:128]
	v_fma_f64 v[117:118], v[135:136], -0.5, v[80:81]
	v_fma_f64 v[92:93], v[104:105], s[8:9], v[100:101]
	v_fma_f64 v[100:101], v[104:105], s[18:19], v[100:101]
	;; [unrolled: 1-line block ×4, first 2 shown]
	v_add_f64 v[62:63], v[94:95], v[62:63]
	v_fma_f64 v[94:95], v[84:85], s[18:19], v[110:111]
	v_fma_f64 v[110:111], v[84:85], s[8:9], v[110:111]
	;; [unrolled: 1-line block ×4, first 2 shown]
	v_add_f64 v[139:140], v[98:99], -v[66:67]
	v_add_f64 v[147:148], v[98:99], v[66:67]
	v_add_f64 v[86:87], v[86:87], v[131:132]
	;; [unrolled: 1-line block ×3, first 2 shown]
	v_fma_f64 v[127:128], v[137:138], s[8:9], v[117:118]
	v_add_f64 v[129:130], v[60:61], v[68:69]
	v_fma_f64 v[60:61], v[106:107], s[10:11], v[92:93]
	v_fma_f64 v[68:69], v[106:107], s[20:21], v[100:101]
	;; [unrolled: 1-line block ×4, first 2 shown]
	v_add_f64 v[100:101], v[62:63], v[70:71]
	v_fma_f64 v[62:63], v[123:124], s[20:21], v[94:95]
	v_fma_f64 v[70:71], v[123:124], s[10:11], v[110:111]
	;; [unrolled: 1-line block ×3, first 2 shown]
	v_add_f64 v[119:120], v[141:142], v[143:144]
	v_add_f64 v[114:115], v[114:115], v[64:65]
	v_fma_f64 v[94:95], v[84:85], s[20:21], v[125:126]
	v_fma_f64 v[84:85], v[139:140], s[10:11], v[127:128]
	;; [unrolled: 1-line block ×9, first 2 shown]
	v_add_f64 v[68:69], v[90:91], v[74:75]
	v_fma_f64 v[76:77], v[147:148], -0.5, v[82:83]
	v_add_f64 v[78:79], v[88:89], -v[72:73]
	v_fma_f64 v[80:81], v[145:146], -0.5, v[80:81]
	v_fma_f64 v[94:95], v[86:87], s[16:17], v[94:95]
	v_add_f64 v[86:87], v[114:115], v[72:73]
	v_fma_f64 v[70:71], v[119:120], s[16:17], v[84:85]
	v_add_f64 v[84:85], v[82:83], v[90:91]
	v_add_f64 v[114:115], v[96:97], -v[64:65]
	v_fma_f64 v[68:69], v[68:69], -0.5, v[82:83]
	v_add_f64 v[82:83], v[96:97], -v[88:89]
	v_add_f64 v[64:65], v[64:65], -v[72:73]
	v_fma_f64 v[72:73], v[78:79], s[18:19], v[76:77]
	v_add_f64 v[88:89], v[90:91], -v[98:99]
	v_add_f64 v[96:97], v[74:75], -v[66:67]
	v_fma_f64 v[60:61], v[137:138], s[18:19], v[117:118]
	v_fma_f64 v[62:63], v[139:140], s[18:19], v[80:81]
	;; [unrolled: 1-line block ×3, first 2 shown]
	v_add_f64 v[84:85], v[84:85], v[98:99]
	v_fma_f64 v[117:118], v[114:115], s[8:9], v[68:69]
	v_add_f64 v[90:91], v[98:99], -v[90:91]
	v_add_f64 v[98:99], v[66:67], -v[74:75]
	v_fma_f64 v[72:73], v[114:115], s[20:21], v[72:73]
	v_fma_f64 v[76:77], v[78:79], s[8:9], v[76:77]
	v_add_f64 v[88:89], v[88:89], v[96:97]
	v_fma_f64 v[68:69], v[114:115], s[18:19], v[68:69]
	v_fma_f64 v[60:61], v[139:140], s[20:21], v[60:61]
	;; [unrolled: 1-line block ×3, first 2 shown]
	v_add_f64 v[64:65], v[82:83], v[64:65]
	v_fma_f64 v[80:81], v[137:138], s[20:21], v[80:81]
	v_fma_f64 v[82:83], v[78:79], s[20:21], v[117:118]
	v_add_f64 v[90:91], v[90:91], v[98:99]
	v_add_f64 v[66:67], v[84:85], v[66:67]
	v_fma_f64 v[76:77], v[114:115], s[10:11], v[76:77]
	v_fma_f64 v[72:73], v[88:89], s[16:17], v[72:73]
	;; [unrolled: 1-line block ×7, first 2 shown]
	v_add_f64 v[98:99], v[66:67], v[74:75]
	v_fma_f64 v[64:65], v[88:89], s[16:17], v[76:77]
	v_mul_f64 v[66:67], v[72:73], s[10:11]
	v_fma_f64 v[68:69], v[90:91], s[16:17], v[68:69]
	v_mul_f64 v[84:85], v[78:79], s[22:23]
	v_add_f64 v[60:61], v[129:130], v[86:87]
	v_mul_f64 v[76:77], v[80:81], s[16:17]
	v_mul_f64 v[74:75], v[82:83], s[8:9]
	;; [unrolled: 1-line block ×3, first 2 shown]
	v_fma_f64 v[88:89], v[70:71], s[22:23], v[66:67]
	v_mul_f64 v[66:67], v[70:71], s[20:21]
	v_mul_f64 v[70:71], v[62:63], s[18:19]
	;; [unrolled: 1-line block ×3, first 2 shown]
	v_fma_f64 v[117:118], v[68:69], s[8:9], -v[76:77]
	v_fma_f64 v[114:115], v[62:63], s[16:17], v[74:75]
	v_fma_f64 v[119:120], v[64:65], s[10:11], -v[84:85]
	v_fma_f64 v[127:128], v[78:79], s[20:21], -v[96:97]
	v_add_f64 v[64:65], v[104:105], v[88:89]
	v_fma_f64 v[121:122], v[72:73], s[22:23], v[66:67]
	v_fma_f64 v[123:124], v[82:83], s[16:17], v[70:71]
	v_fma_f64 v[125:126], v[80:81], s[18:19], -v[90:91]
	v_add_f64 v[72:73], v[106:107], v[117:118]
	v_add_f64 v[68:69], v[92:93], v[114:115]
	;; [unrolled: 1-line block ×8, first 2 shown]
	v_add_f64 v[80:81], v[129:130], -v[86:87]
	v_add_f64 v[84:85], v[104:105], -v[88:89]
	;; [unrolled: 1-line block ×10, first 2 shown]
	s_and_saveexec_b64 s[8:9], s[2:3]
	s_cbranch_execz .LBB0_11
; %bb.10:
	ds_write_b128 v237, v[60:63]
	ds_write_b128 v237, v[64:67] offset:1056
	ds_write_b128 v237, v[68:71] offset:2112
	ds_write_b128 v237, v[72:75] offset:3168
	ds_write_b128 v237, v[76:79] offset:4224
	ds_write_b128 v237, v[80:83] offset:5280
	ds_write_b128 v237, v[84:87] offset:6336
	ds_write_b128 v237, v[88:91] offset:7392
	ds_write_b128 v237, v[92:95] offset:8448
	ds_write_b128 v237, v[96:99] offset:9504
.LBB0_11:
	s_or_b64 exec, exec, s[8:9]
	s_waitcnt vmcnt(0) lgkmcnt(0)
	s_barrier
	s_and_saveexec_b64 s[8:9], s[0:1]
	s_cbranch_execz .LBB0_13
; %bb.12:
	v_mov_b32_e32 v12, s15
	v_add_co_u32_e32 v13, vcc, s14, v237
	v_addc_co_u32_e32 v12, vcc, 0, v12, vcc
	v_add_co_u32_e32 v117, vcc, 0x2940, v13
	v_addc_co_u32_e32 v118, vcc, 0, v12, vcc
	s_movk_i32 s10, 0x3000
	v_add_co_u32_e32 v141, vcc, s10, v13
	global_load_dwordx4 v[100:103], v[117:118], off offset:960
	global_load_dwordx4 v[104:107], v[117:118], off offset:1920
	;; [unrolled: 1-line block ×4, first 2 shown]
	v_addc_co_u32_e32 v142, vcc, 0, v12, vcc
	s_movk_i32 s10, 0x4000
	v_add_co_u32_e32 v133, vcc, s10, v13
	v_addc_co_u32_e32 v134, vcc, 0, v12, vcc
	global_load_dwordx4 v[117:120], v[141:142], off offset:4032
	global_load_dwordx4 v[121:124], v[133:134], off offset:896
	v_add_co_u32_e32 v137, vcc, 0x2000, v13
	v_addc_co_u32_e32 v138, vcc, 0, v12, vcc
	global_load_dwordx4 v[125:128], v[133:134], off offset:1856
	global_load_dwordx4 v[129:132], v[133:134], off offset:2816
	s_nop 0
	global_load_dwordx4 v[133:136], v[133:134], off offset:3776
	s_nop 0
	global_load_dwordx4 v[137:140], v[137:138], off offset:2368
	s_nop 0
	global_load_dwordx4 v[141:144], v[141:142], off offset:3072
	ds_read_b128 v[145:148], v237
	ds_read_b128 v[149:152], v237 offset:960
	ds_read_b128 v[153:156], v237 offset:1920
	;; [unrolled: 1-line block ×10, first 2 shown]
	s_waitcnt vmcnt(10) lgkmcnt(9)
	v_mul_f64 v[189:190], v[151:152], v[102:103]
	v_mul_f64 v[102:103], v[149:150], v[102:103]
	s_waitcnt vmcnt(9) lgkmcnt(8)
	v_mul_f64 v[191:192], v[155:156], v[106:107]
	v_mul_f64 v[106:107], v[153:154], v[106:107]
	;; [unrolled: 3-line block ×4, first 2 shown]
	v_fma_f64 v[149:150], v[149:150], v[100:101], -v[189:190]
	v_fma_f64 v[151:152], v[151:152], v[100:101], v[102:103]
	s_waitcnt vmcnt(6) lgkmcnt(4)
	v_mul_f64 v[197:198], v[171:172], v[119:120]
	v_mul_f64 v[119:120], v[169:170], v[119:120]
	s_waitcnt vmcnt(5) lgkmcnt(3)
	v_mul_f64 v[199:200], v[175:176], v[123:124]
	v_mul_f64 v[123:124], v[173:174], v[123:124]
	;; [unrolled: 3-line block ×5, first 2 shown]
	s_waitcnt vmcnt(1)
	v_mul_f64 v[207:208], v[147:148], v[139:140]
	v_mul_f64 v[139:140], v[145:146], v[139:140]
	s_waitcnt vmcnt(0)
	v_mul_f64 v[209:210], v[167:168], v[143:144]
	v_mul_f64 v[143:144], v[165:166], v[143:144]
	v_fma_f64 v[100:101], v[153:154], v[104:105], -v[191:192]
	v_fma_f64 v[102:103], v[155:156], v[104:105], v[106:107]
	v_fma_f64 v[104:105], v[157:158], v[108:109], -v[193:194]
	v_fma_f64 v[106:107], v[159:160], v[108:109], v[110:111]
	;; [unrolled: 2-line block ×10, first 2 shown]
	ds_write_b128 v237, v[149:152] offset:960
	ds_write_b128 v237, v[100:103] offset:1920
	;; [unrolled: 1-line block ×8, first 2 shown]
	ds_write_b128 v237, v[133:136]
	ds_write_b128 v237, v[137:140] offset:4800
	ds_write_b128 v237, v[129:132] offset:9600
.LBB0_13:
	s_or_b64 exec, exec, s[8:9]
	s_waitcnt lgkmcnt(0)
	s_barrier
	s_and_saveexec_b64 s[8:9], s[0:1]
	s_cbranch_execz .LBB0_15
; %bb.14:
	ds_read_b128 v[60:63], v237
	ds_read_b128 v[64:67], v237 offset:960
	ds_read_b128 v[68:71], v237 offset:1920
	ds_read_b128 v[72:75], v237 offset:2880
	ds_read_b128 v[76:79], v237 offset:3840
	ds_read_b128 v[80:83], v237 offset:4800
	ds_read_b128 v[84:87], v237 offset:5760
	ds_read_b128 v[88:91], v237 offset:6720
	ds_read_b128 v[92:95], v237 offset:7680
	ds_read_b128 v[96:99], v237 offset:8640
	ds_read_b128 v[0:3], v237 offset:9600
	s_waitcnt lgkmcnt(0)
	buffer_store_dword v0, off, s[44:47], 0 ; 4-byte Folded Spill
	s_nop 0
	buffer_store_dword v1, off, s[44:47], 0 offset:4 ; 4-byte Folded Spill
	buffer_store_dword v2, off, s[44:47], 0 offset:8 ; 4-byte Folded Spill
	;; [unrolled: 1-line block ×3, first 2 shown]
.LBB0_15:
	s_or_b64 exec, exec, s[8:9]
	buffer_load_dword v0, off, s[44:47], 0  ; 4-byte Folded Reload
	buffer_load_dword v1, off, s[44:47], 0 offset:4 ; 4-byte Folded Reload
	buffer_load_dword v2, off, s[44:47], 0 offset:8 ; 4-byte Folded Reload
	;; [unrolled: 1-line block ×3, first 2 shown]
	s_mov_b32 s10, 0x8eee2c13
	s_mov_b32 s11, 0xbfed1bb4
	v_add_f64 v[133:134], v[70:71], -v[98:99]
	s_mov_b32 s8, 0xd9c712b6
	s_mov_b32 s24, 0xbb3a28a1
	s_mov_b32 s9, 0x3fda9628
	s_mov_b32 s25, 0xbfe82f19
	v_add_f64 v[125:126], v[68:69], v[96:97]
	v_add_f64 v[127:128], v[70:71], v[98:99]
	s_mov_b32 s18, 0x43842ef
	s_mov_b32 s20, 0x7f775887
	;; [unrolled: 1-line block ×4, first 2 shown]
	v_add_f64 v[131:132], v[68:69], -v[96:97]
	s_mov_b32 s16, 0x640f44db
	s_mov_b32 s26, 0xfd768dbf
	v_mul_f64 v[42:43], v[127:128], s[20:21]
	s_mov_b32 s17, 0xbfc2375f
	s_mov_b32 s27, 0xbfd207e7
	s_mov_b32 s35, 0x3fd207e7
	s_mov_b32 s34, s26
	v_mul_f64 v[48:49], v[133:134], s[34:35]
	s_mov_b32 s22, 0x9bcd5057
	s_mov_b32 s23, 0xbfeeb42a
	v_mul_f64 v[50:51], v[127:128], s[22:23]
	s_mov_b32 s39, 0x3fefac9e
	s_mov_b32 s38, s18
	v_mul_f64 v[56:57], v[133:134], s[38:39]
	v_mul_f64 v[129:130], v[127:128], s[16:17]
	s_mov_b32 s36, 0xf8bb580b
	s_mov_b32 s37, 0x3fe14ced
	v_mul_f64 v[139:140], v[133:134], s[36:37]
	s_mov_b32 s28, 0x8764f0ba
	s_mov_b32 s29, 0x3feaeb8c
	v_mul_f64 v[187:188], v[127:128], s[28:29]
	v_add_f64 v[151:152], v[74:75], -v[94:95]
	v_add_f64 v[143:144], v[74:75], v[94:95]
	v_add_f64 v[149:150], v[72:73], -v[92:93]
	s_mov_b32 s41, 0x3fed1bb4
	s_mov_b32 s40, s10
	;; [unrolled: 1-line block ×4, first 2 shown]
	v_add_f64 v[175:176], v[78:79], -v[90:91]
	v_mul_f64 v[46:47], v[151:152], s[34:35]
	v_mul_f64 v[121:122], v[143:144], s[22:23]
	v_mul_f64 v[145:146], v[151:152], s[40:41]
	v_mul_f64 v[157:158], v[143:144], s[8:9]
	v_mul_f64 v[6:7], v[151:152], s[30:31]
	v_mul_f64 v[203:204], v[143:144], s[28:29]
	v_mul_f64 v[207:208], v[151:152], s[24:25]
	v_mul_f64 v[211:212], v[143:144], s[20:21]
	v_add_f64 v[169:170], v[78:79], v[90:91]
	v_mul_f64 v[137:138], v[175:176], s[38:39]
	v_add_f64 v[173:174], v[76:77], -v[88:89]
	v_mul_f64 v[209:210], v[175:176], s[30:31]
	v_mul_f64 v[215:216], v[175:176], s[26:27]
	;; [unrolled: 1-line block ×3, first 2 shown]
	v_add_f64 v[201:202], v[82:83], -v[86:87]
	v_add_f64 v[193:194], v[82:83], v[86:87]
	v_mul_f64 v[213:214], v[169:170], s[28:29]
	v_mul_f64 v[219:220], v[169:170], s[22:23]
	;; [unrolled: 1-line block ×3, first 2 shown]
	v_add_f64 v[197:198], v[80:81], -v[84:85]
	s_waitcnt vmcnt(0)
	s_barrier
	v_mul_f64 v[205:206], v[201:202], s[36:37]
	v_mul_f64 v[217:218], v[193:194], s[28:29]
	;; [unrolled: 1-line block ×6, first 2 shown]
	v_add_f64 v[58:59], v[66:67], -v[2:3]
	v_add_f64 v[117:118], v[64:65], v[0:1]
	v_add_f64 v[44:45], v[66:67], v[2:3]
	v_add_f64 v[123:124], v[64:65], -v[0:1]
	v_mul_f64 v[0:1], v[133:134], s[24:25]
	v_mul_f64 v[2:3], v[169:170], s[16:17]
	;; [unrolled: 1-line block ×6, first 2 shown]
	v_fma_f64 v[141:142], v[125:126], s[20:21], -v[0:1]
	v_mul_f64 v[34:35], v[58:59], s[24:25]
	v_mul_f64 v[52:53], v[44:45], s[20:21]
	;; [unrolled: 1-line block ×3, first 2 shown]
	v_fma_f64 v[100:101], v[117:118], s[8:9], -v[12:13]
	v_fma_f64 v[104:105], v[117:118], s[16:17], -v[14:15]
	v_fma_f64 v[102:103], v[123:124], s[10:11], v[32:33]
	v_fma_f64 v[106:107], v[123:124], s[18:19], v[40:41]
	v_mul_f64 v[135:136], v[44:45], s[22:23]
	v_fma_f64 v[108:109], v[117:118], s[20:21], -v[34:35]
	v_fma_f64 v[110:111], v[123:124], s[24:25], v[52:53]
	v_fma_f64 v[112:113], v[117:118], s[22:23], -v[54:55]
	v_add_f64 v[100:101], v[60:61], v[100:101]
	v_add_f64 v[104:105], v[60:61], v[104:105]
	;; [unrolled: 1-line block ×4, first 2 shown]
	v_fma_f64 v[114:115], v[123:124], s[26:27], v[135:136]
	v_add_f64 v[108:109], v[60:61], v[108:109]
	v_add_f64 v[110:111], v[62:63], v[110:111]
	;; [unrolled: 1-line block ×4, first 2 shown]
	v_fma_f64 v[141:142], v[131:132], s[24:25], v[42:43]
	v_add_f64 v[114:115], v[62:63], v[114:115]
	v_add_f64 v[102:103], v[141:142], v[102:103]
	v_fma_f64 v[141:142], v[125:126], s[22:23], -v[48:49]
	v_add_f64 v[104:105], v[141:142], v[104:105]
	v_fma_f64 v[141:142], v[131:132], s[34:35], v[50:51]
	v_add_f64 v[106:107], v[141:142], v[106:107]
	v_fma_f64 v[141:142], v[125:126], s[16:17], -v[56:57]
	v_add_f64 v[108:109], v[141:142], v[108:109]
	v_fma_f64 v[141:142], v[131:132], s[38:39], v[129:130]
	;; [unrolled: 4-line block ×3, first 2 shown]
	v_add_f64 v[114:115], v[141:142], v[114:115]
	v_add_f64 v[141:142], v[72:73], v[92:93]
	v_fma_f64 v[167:168], v[141:142], s[22:23], -v[46:47]
	v_add_f64 v[100:101], v[167:168], v[100:101]
	v_fma_f64 v[167:168], v[149:150], s[34:35], v[121:122]
	v_add_f64 v[102:103], v[167:168], v[102:103]
	v_fma_f64 v[167:168], v[141:142], s[8:9], -v[145:146]
	v_add_f64 v[104:105], v[167:168], v[104:105]
	v_fma_f64 v[167:168], v[149:150], s[40:41], v[157:158]
	;; [unrolled: 4-line block ×4, first 2 shown]
	v_add_f64 v[114:115], v[167:168], v[114:115]
	v_add_f64 v[167:168], v[76:77], v[88:89]
	v_fma_f64 v[191:192], v[167:168], s[16:17], -v[137:138]
	v_add_f64 v[100:101], v[191:192], v[100:101]
	v_fma_f64 v[191:192], v[173:174], s[38:39], v[2:3]
	v_add_f64 v[102:103], v[191:192], v[102:103]
	v_fma_f64 v[191:192], v[167:168], s[28:29], -v[209:210]
	v_add_f64 v[104:105], v[191:192], v[104:105]
	v_fma_f64 v[191:192], v[173:174], s[30:31], v[213:214]
	;; [unrolled: 4-line block ×3, first 2 shown]
	v_add_f64 v[191:192], v[80:81], v[84:85]
	v_add_f64 v[235:236], v[108:109], v[110:111]
	v_fma_f64 v[108:109], v[167:168], s[8:9], -v[223:224]
	v_add_f64 v[112:113], v[108:109], v[112:113]
	v_fma_f64 v[108:109], v[173:174], s[40:41], v[225:226]
	v_add_f64 v[114:115], v[108:109], v[114:115]
	v_fma_f64 v[108:109], v[191:192], s[28:29], -v[205:206]
	v_add_f64 v[100:101], v[108:109], v[100:101]
	v_fma_f64 v[108:109], v[197:198], s[36:37], v[217:218]
	;; [unrolled: 4-line block ×3, first 2 shown]
	v_add_f64 v[110:111], v[104:105], v[106:107]
	v_fma_f64 v[104:105], v[191:192], s[8:9], -v[229:230]
	v_fma_f64 v[106:107], v[197:198], s[40:41], v[231:232]
	v_add_f64 v[104:105], v[104:105], v[233:234]
	v_mul_f64 v[233:234], v[201:202], s[18:19]
	v_add_f64 v[106:107], v[106:107], v[235:236]
	v_mul_f64 v[235:236], v[193:194], s[16:17]
	v_fma_f64 v[241:242], v[191:192], s[16:17], -v[233:234]
	v_add_f64 v[112:113], v[241:242], v[112:113]
	v_fma_f64 v[241:242], v[197:198], s[18:19], v[235:236]
	v_add_f64 v[114:115], v[241:242], v[114:115]
	s_and_saveexec_b64 s[42:43], s[0:1]
	s_cbranch_execz .LBB0_17
; %bb.16:
	v_mov_b32_e32 v116, v238
	v_mov_b32_e32 v242, v239
	v_mul_f64 v[238:239], v[123:124], s[26:27]
	v_mul_f64 v[119:120], v[117:118], s[8:9]
	;; [unrolled: 1-line block ×6, first 2 shown]
	buffer_store_dword v119, off, s[44:47], 0 offset:176 ; 4-byte Folded Spill
	s_nop 0
	buffer_store_dword v120, off, s[44:47], 0 offset:180 ; 4-byte Folded Spill
	buffer_store_dword v46, off, s[44:47], 0 offset:120 ; 4-byte Folded Spill
	s_nop 0
	buffer_store_dword v47, off, s[44:47], 0 offset:124 ; 4-byte Folded Spill
	v_add_f64 v[238:239], v[135:136], -v[238:239]
	v_mul_f64 v[46:47], v[123:124], s[10:11]
	v_add_f64 v[155:156], v[187:188], -v[155:156]
	v_add_f64 v[253:254], v[253:254], v[54:55]
	v_mul_f64 v[135:136], v[167:168], s[16:17]
	buffer_store_dword v46, off, s[44:47], 0 offset:200 ; 4-byte Folded Spill
	s_nop 0
	buffer_store_dword v47, off, s[44:47], 0 offset:204 ; 4-byte Folded Spill
	buffer_store_dword v121, off, s[44:47], 0 offset:192 ; 4-byte Folded Spill
	s_nop 0
	buffer_store_dword v122, off, s[44:47], 0 offset:196 ; 4-byte Folded Spill
	v_add_f64 v[187:188], v[62:63], v[238:239]
	buffer_store_dword v0, off, s[44:47], 0 offset:160 ; 4-byte Folded Spill
	s_nop 0
	buffer_store_dword v1, off, s[44:47], 0 offset:164 ; 4-byte Folded Spill
	buffer_store_dword v2, off, s[44:47], 0 offset:184 ; 4-byte Folded Spill
	s_nop 0
	buffer_store_dword v3, off, s[44:47], 0 offset:188 ; 4-byte Folded Spill
	;; [unrolled: 3-line block ×3, first 2 shown]
	v_mov_b32_e32 v59, v51
	v_mul_f64 v[0:1], v[125:126], s[20:21]
	v_mov_b32_e32 v2, v32
	v_mov_b32_e32 v58, v50
	;; [unrolled: 1-line block ×3, first 2 shown]
	v_mul_f64 v[46:47], v[141:142], s[22:23]
	v_mul_f64 v[54:55], v[191:192], s[28:29]
	v_mov_b32_e32 v3, v33
	v_mov_b32_e32 v50, v34
	;; [unrolled: 1-line block ×6, first 2 shown]
	v_mul_f64 v[251:252], v[123:124], s[24:25]
	v_mul_f64 v[171:172], v[141:142], s[20:21]
	;; [unrolled: 1-line block ×3, first 2 shown]
	v_add_f64 v[177:178], v[211:212], -v[177:178]
	v_add_f64 v[155:156], v[155:156], v[187:188]
	v_add_f64 v[153:154], v[153:154], v[139:140]
	;; [unrolled: 1-line block ×3, first 2 shown]
	buffer_store_dword v0, off, s[44:47], 0 offset:168 ; 4-byte Folded Spill
	s_nop 0
	buffer_store_dword v1, off, s[44:47], 0 offset:172 ; 4-byte Folded Spill
	v_mov_b32_e32 v120, v7
	v_mov_b32_e32 v119, v6
	buffer_load_dword v4, off, s[44:47], 0  ; 4-byte Folded Reload
	buffer_load_dword v5, off, s[44:47], 0 offset:4 ; 4-byte Folded Reload
	buffer_load_dword v6, off, s[44:47], 0 offset:8 ; 4-byte Folded Reload
	;; [unrolled: 1-line block ×3, first 2 shown]
	s_nop 0
	buffer_store_dword v137, off, s[44:47], 0 offset:128 ; 4-byte Folded Spill
	s_nop 0
	buffer_store_dword v138, off, s[44:47], 0 offset:132 ; 4-byte Folded Spill
	buffer_store_dword v46, off, s[44:47], 0 offset:136 ; 4-byte Folded Spill
	s_nop 0
	buffer_store_dword v47, off, s[44:47], 0 offset:140 ; 4-byte Folded Spill
	;; [unrolled: 3-line block ×4, first 2 shown]
	v_mov_b32_e32 v55, v43
	v_add_f64 v[251:252], v[52:53], -v[251:252]
	v_mov_b32_e32 v53, v13
	v_mov_b32_e32 v54, v42
	;; [unrolled: 1-line block ×3, first 2 shown]
	v_mul_f64 v[195:196], v[123:124], s[18:19]
	v_mul_f64 v[199:200], v[131:132], s[38:39]
	;; [unrolled: 1-line block ×4, first 2 shown]
	v_mov_b32_e32 v52, v12
	v_mul_f64 v[12:13], v[197:198], s[18:19]
	v_mov_b32_e32 v42, v14
	v_add_f64 v[14:15], v[225:226], -v[189:190]
	v_add_f64 v[155:156], v[177:178], v[155:156]
	v_add_f64 v[171:172], v[171:172], v[207:208]
	v_add_f64 v[153:154], v[153:154], v[253:254]
	v_mul_f64 v[137:138], v[131:132], s[34:35]
	v_mul_f64 v[183:184], v[173:174], s[26:27]
	v_add_f64 v[139:140], v[129:130], -v[199:200]
	v_add_f64 v[189:190], v[62:63], v[251:252]
	v_add_f64 v[12:13], v[235:236], -v[12:13]
	v_add_f64 v[14:15], v[14:15], v[155:156]
	v_mul_f64 v[155:156], v[191:192], s[16:17]
	v_add_f64 v[185:186], v[185:186], v[223:224]
	v_add_f64 v[165:166], v[203:204], -v[165:166]
	v_add_f64 v[153:154], v[171:172], v[153:154]
	v_add_f64 v[203:204], v[40:41], -v[195:196]
	v_mul_f64 v[161:162], v[149:150], s[40:41]
	v_add_f64 v[189:190], v[139:140], v[189:190]
	v_add_f64 v[139:140], v[12:13], v[14:15]
	;; [unrolled: 1-line block ×3, first 2 shown]
	v_add_f64 v[14:15], v[219:220], -v[183:184]
	v_add_f64 v[183:184], v[58:59], -v[137:138]
	v_add_f64 v[153:154], v[185:186], v[153:154]
	v_add_f64 v[185:186], v[62:63], v[203:204]
	v_mul_f64 v[249:250], v[117:118], s[20:21]
	v_mul_f64 v[159:160], v[141:142], s[8:9]
	v_mov_b32_e32 v0, v145
	v_mov_b32_e32 v1, v146
	v_mul_f64 v[46:47], v[149:150], s[34:35]
	v_mul_f64 v[147:148], v[125:126], s[16:17]
	v_add_f64 v[137:138], v[12:13], v[153:154]
	v_add_f64 v[12:13], v[157:158], -v[161:162]
	v_add_f64 v[153:154], v[183:184], v[185:186]
	v_add_f64 v[155:156], v[249:250], v[50:51]
	v_mov_b32_e32 v251, v35
	v_mov_b32_e32 v250, v34
	;; [unrolled: 1-line block ×4, first 2 shown]
	buffer_load_dword v32, off, s[44:47], 0 offset:200 ; 4-byte Folded Reload
	buffer_load_dword v33, off, s[44:47], 0 offset:204 ; 4-byte Folded Reload
	v_mul_f64 v[163:164], v[141:142], s[28:29]
	v_add_f64 v[12:13], v[12:13], v[153:154]
	v_add_f64 v[153:154], v[159:160], v[0:1]
	buffer_load_dword v0, off, s[44:47], 0 offset:192 ; 4-byte Folded Reload
	buffer_load_dword v1, off, s[44:47], 0 offset:196 ; 4-byte Folded Reload
	v_add_f64 v[147:148], v[147:148], v[56:57]
	v_add_f64 v[155:156], v[60:61], v[155:156]
	v_mul_f64 v[238:239], v[167:168], s[22:23]
	v_mov_b32_e32 v122, v49
	v_add_f64 v[163:164], v[163:164], v[119:120]
	v_mov_b32_e32 v121, v48
	v_mul_f64 v[48:49], v[117:118], s[16:17]
	v_mul_f64 v[145:146], v[125:126], s[22:23]
	;; [unrolled: 1-line block ×3, first 2 shown]
	v_add_f64 v[147:148], v[147:148], v[155:156]
	v_add_f64 v[159:160], v[238:239], v[215:216]
	;; [unrolled: 1-line block ×3, first 2 shown]
	v_mul_f64 v[135:136], v[173:174], s[30:31]
	v_mul_f64 v[181:182], v[167:168], s[28:29]
	v_add_f64 v[189:190], v[48:49], v[42:43]
	v_add_f64 v[161:162], v[145:146], v[121:122]
	v_add_f64 v[171:172], v[231:232], -v[171:172]
	v_add_f64 v[147:148], v[163:164], v[147:148]
	v_mul_f64 v[179:180], v[173:174], s[38:39]
	v_add_f64 v[14:15], v[14:15], v[165:166]
	v_mul_f64 v[240:241], v[131:132], s[24:25]
	v_mul_f64 v[177:178], v[197:198], s[24:25]
	v_add_f64 v[165:166], v[60:61], v[189:190]
	v_add_f64 v[66:67], v[62:63], v[66:67]
	;; [unrolled: 1-line block ×4, first 2 shown]
	v_mul_f64 v[123:124], v[123:124], s[30:31]
	v_add_f64 v[145:146], v[171:172], v[14:15]
	v_add_f64 v[14:15], v[213:214], -v[135:136]
	v_add_f64 v[129:130], v[54:55], -v[240:241]
	v_add_f64 v[155:156], v[161:162], v[165:166]
	v_add_f64 v[161:162], v[227:228], -v[177:178]
	v_add_f64 v[66:67], v[66:67], v[70:71]
	v_add_f64 v[68:69], v[64:65], v[68:69]
	v_mul_f64 v[187:188], v[197:198], s[36:37]
	v_mul_f64 v[131:132], v[131:132], s[10:11]
	v_add_f64 v[12:13], v[14:15], v[12:13]
	v_add_f64 v[14:15], v[181:182], v[209:210]
	;; [unrolled: 1-line block ×3, first 2 shown]
	v_fma_f64 v[163:164], v[44:45], s[28:29], v[123:124]
	v_add_f64 v[66:67], v[66:67], v[74:75]
	v_add_f64 v[68:69], v[68:69], v[72:73]
	v_fma_f64 v[119:120], v[44:45], s[28:29], -v[123:124]
	v_mul_f64 v[121:122], v[133:134], s[10:11]
	v_mul_f64 v[149:150], v[149:150], s[18:19]
	v_fma_f64 v[70:71], v[127:128], s[8:9], v[131:132]
	v_add_f64 v[14:15], v[14:15], v[153:154]
	v_mul_f64 v[211:212], v[191:192], s[20:21]
	v_add_f64 v[66:67], v[66:67], v[78:79]
	v_add_f64 v[68:69], v[68:69], v[76:77]
	v_mul_f64 v[78:79], v[175:176], s[24:25]
	v_mul_f64 v[207:208], v[191:192], s[8:9]
	v_fma_f64 v[72:73], v[143:144], s[16:17], v[149:150]
	v_mov_b32_e32 v239, v242
	v_add_f64 v[66:67], v[66:67], v[82:83]
	v_add_f64 v[68:69], v[68:69], v[80:81]
	v_mul_f64 v[82:83], v[151:152], s[18:19]
	v_add_f64 v[155:156], v[207:208], v[229:230]
	v_add_f64 v[66:67], v[66:67], v[86:87]
	;; [unrolled: 1-line block ×3, first 2 shown]
	v_fma_f64 v[84:85], v[125:126], s[8:9], -v[121:122]
	v_fma_f64 v[86:87], v[141:142], s[16:17], v[82:83]
	v_fma_f64 v[82:83], v[141:142], s[16:17], -v[82:83]
	v_add_f64 v[66:67], v[66:67], v[90:91]
	v_add_f64 v[68:69], v[68:69], v[88:89]
	s_waitcnt vmcnt(2)
	v_add_f64 v[135:136], v[2:3], -v[32:33]
	s_waitcnt vmcnt(0)
	v_add_f64 v[157:158], v[0:1], -v[46:47]
	buffer_load_dword v0, off, s[44:47], 0 offset:176 ; 4-byte Folded Reload
	buffer_load_dword v1, off, s[44:47], 0 offset:180 ; 4-byte Folded Reload
	v_add_f64 v[66:67], v[66:67], v[94:95]
	v_add_f64 v[68:69], v[68:69], v[92:93]
	;; [unrolled: 1-line block ×8, first 2 shown]
	v_add_f64 v[157:158], v[217:218], -v[187:188]
	s_waitcnt vmcnt(0)
	v_add_f64 v[159:160], v[0:1], v[52:53]
	buffer_load_dword v0, off, s[44:47], 0 offset:184 ; 4-byte Folded Reload
	buffer_load_dword v1, off, s[44:47], 0 offset:188 ; 4-byte Folded Reload
	v_add_f64 v[159:160], v[60:61], v[159:160]
	s_waitcnt vmcnt(0)
	v_add_f64 v[153:154], v[0:1], -v[179:180]
	buffer_load_dword v0, off, s[44:47], 0 offset:160 ; 4-byte Folded Reload
	buffer_load_dword v1, off, s[44:47], 0 offset:164 ; 4-byte Folded Reload
	;; [unrolled: 1-line block ×4, first 2 shown]
	v_add_f64 v[135:136], v[153:154], v[135:136]
	v_add_f64 v[153:154], v[62:63], v[163:164]
	;; [unrolled: 1-line block ×3, first 2 shown]
	v_fma_f64 v[119:120], v[125:126], s[8:9], v[121:122]
	v_add_f64 v[64:65], v[157:158], v[135:136]
	v_mul_f64 v[135:136], v[173:174], s[24:25]
	v_add_f64 v[70:71], v[70:71], v[153:154]
	v_mul_f64 v[157:158], v[197:198], s[26:27]
	;; [unrolled: 2-line block ×3, first 2 shown]
	v_fma_f64 v[88:89], v[191:192], s[22:23], -v[72:73]
	s_waitcnt vmcnt(0)
	v_add_f64 v[161:162], v[2:3], v[0:1]
	buffer_load_dword v0, off, s[44:47], 0 offset:120 ; 4-byte Folded Reload
	buffer_load_dword v1, off, s[44:47], 0 offset:124 ; 4-byte Folded Reload
	;; [unrolled: 1-line block ×4, first 2 shown]
	v_add_f64 v[159:160], v[161:162], v[159:160]
	s_waitcnt vmcnt(0)
	v_add_f64 v[165:166], v[2:3], v[0:1]
	buffer_load_dword v0, off, s[44:47], 0 offset:128 ; 4-byte Folded Reload
	buffer_load_dword v1, off, s[44:47], 0 offset:132 ; 4-byte Folded Reload
	;; [unrolled: 1-line block ×4, first 2 shown]
	v_add_f64 v[159:160], v[165:166], v[159:160]
	s_waitcnt vmcnt(0)
	v_add_f64 v[161:162], v[2:3], v[0:1]
	buffer_load_dword v0, off, s[44:47], 0 offset:152 ; 4-byte Folded Reload
	buffer_load_dword v1, off, s[44:47], 0 offset:156 ; 4-byte Folded Reload
	v_add_f64 v[2:3], v[66:67], v[6:7]
	v_add_f64 v[153:154], v[161:162], v[159:160]
	v_fma_f64 v[159:160], v[169:170], s[20:21], v[135:136]
	v_add_f64 v[70:71], v[159:160], v[70:71]
	s_waitcnt vmcnt(0)
	v_add_f64 v[74:75], v[0:1], v[205:206]
	buffer_load_dword v0, off, s[44:47], 0 offset:112 ; 4-byte Folded Reload
	buffer_load_dword v1, off, s[44:47], 0 offset:116 ; 4-byte Folded Reload
	s_waitcnt vmcnt(0)
	v_mul_f64 v[76:77], v[0:1], s[30:31]
	v_fma_f64 v[80:81], v[117:118], s[28:29], v[76:77]
	v_fma_f64 v[76:77], v[117:118], s[28:29], -v[76:77]
	v_fma_f64 v[117:118], v[127:128], s[8:9], -v[131:132]
	v_add_f64 v[127:128], v[12:13], v[14:15]
	v_lshlrev_b32_e32 v12, 4, v116
	v_add_f64 v[80:81], v[60:61], v[80:81]
	v_add_f64 v[60:61], v[60:61], v[76:77]
	v_fma_f64 v[76:77], v[143:144], s[16:17], -v[149:150]
	v_add_f64 v[62:63], v[117:118], v[62:63]
	v_add_f64 v[143:144], v[155:156], v[147:148]
	;; [unrolled: 1-line block ×4, first 2 shown]
	v_fma_f64 v[84:85], v[169:170], s[20:21], -v[135:136]
	v_add_f64 v[62:63], v[76:77], v[62:63]
	v_fma_f64 v[76:77], v[167:168], s[20:21], v[78:79]
	v_fma_f64 v[78:79], v[167:168], s[20:21], -v[78:79]
	v_add_f64 v[80:81], v[86:87], v[80:81]
	v_add_f64 v[60:61], v[82:83], v[60:61]
	;; [unrolled: 1-line block ×3, first 2 shown]
	v_fma_f64 v[82:83], v[193:194], s[22:23], -v[157:158]
	v_add_f64 v[62:63], v[84:85], v[62:63]
	v_fma_f64 v[84:85], v[191:192], s[22:23], v[72:73]
	v_add_f64 v[76:77], v[76:77], v[80:81]
	v_fma_f64 v[80:81], v[193:194], s[22:23], v[157:158]
	v_add_f64 v[60:61], v[78:79], v[60:61]
	v_add_f64 v[0:1], v[86:87], v[4:5]
	;; [unrolled: 1-line block ×7, first 2 shown]
	ds_write_b128 v12, v[0:3]
	ds_write_b128 v12, v[66:69] offset:16
	ds_write_b128 v12, v[62:65] offset:32
	;; [unrolled: 1-line block ×10, first 2 shown]
.LBB0_17:
	s_or_b64 exec, exec, s[42:43]
	s_waitcnt lgkmcnt(0)
	s_barrier
	ds_read_b128 v[0:3], v237 offset:3520
	ds_read_b128 v[60:63], v237 offset:7040
	;; [unrolled: 1-line block ×4, first 2 shown]
	ds_read_b128 v[72:75], v237
	ds_read_b128 v[76:79], v237 offset:1760
	buffer_load_dword v4, off, s[44:47], 0 offset:16 ; 4-byte Folded Reload
	buffer_load_dword v5, off, s[44:47], 0 offset:20 ; 4-byte Folded Reload
	;; [unrolled: 1-line block ×4, first 2 shown]
	s_waitcnt lgkmcnt(5)
	v_mul_f64 v[12:13], v[18:19], v[2:3]
	s_waitcnt lgkmcnt(4)
	v_mul_f64 v[14:15], v[30:31], v[62:63]
	v_mul_f64 v[18:19], v[18:19], v[0:1]
	s_waitcnt lgkmcnt(3)
	v_mul_f64 v[80:81], v[10:11], v[64:65]
	v_mul_f64 v[10:11], v[10:11], v[66:67]
	s_mov_b32 s8, 0xe8584caa
	s_mov_b32 s9, 0xbfebb67a
	;; [unrolled: 1-line block ×3, first 2 shown]
	v_fma_f64 v[0:1], v[16:17], v[0:1], v[12:13]
	v_fma_f64 v[12:13], v[28:29], v[60:61], v[14:15]
	v_mul_f64 v[14:15], v[30:31], v[60:61]
	s_waitcnt lgkmcnt(2)
	v_mul_f64 v[30:31], v[26:27], v[68:69]
	v_fma_f64 v[2:3], v[16:17], v[2:3], -v[18:19]
	v_fma_f64 v[16:17], v[8:9], v[66:67], -v[80:81]
	v_mul_f64 v[18:19], v[26:27], v[70:71]
	v_fma_f64 v[8:9], v[8:9], v[64:65], v[10:11]
	s_mov_b32 s10, s8
	v_add_f64 v[26:27], v[0:1], v[12:13]
	v_fma_f64 v[14:15], v[28:29], v[62:63], -v[14:15]
	v_fma_f64 v[28:29], v[24:25], v[70:71], -v[30:31]
	s_waitcnt lgkmcnt(1)
	v_add_f64 v[66:67], v[74:75], v[2:3]
	s_waitcnt lgkmcnt(0)
	v_fma_f64 v[10:11], v[24:25], v[68:69], v[18:19]
	s_waitcnt vmcnt(0)
	s_barrier
	v_fma_f64 v[18:19], v[26:27], -0.5, v[72:73]
	v_add_f64 v[24:25], v[2:3], -v[14:15]
	v_add_f64 v[26:27], v[16:17], v[28:29]
	v_add_f64 v[2:3], v[2:3], v[14:15]
	v_add_f64 v[68:69], v[16:17], -v[28:29]
	v_add_f64 v[64:65], v[8:9], -v[10:11]
	v_add_f64 v[14:15], v[66:67], v[14:15]
	v_fma_f64 v[62:63], v[24:25], s[8:9], v[18:19]
	v_fma_f64 v[18:19], v[24:25], s[10:11], v[18:19]
	v_fma_f64 v[2:3], v[2:3], -0.5, v[74:75]
	v_mul_f64 v[60:61], v[6:7], v[76:77]
	v_mul_f64 v[6:7], v[6:7], v[78:79]
	v_fma_f64 v[30:31], v[4:5], v[78:79], -v[60:61]
	v_fma_f64 v[4:5], v[4:5], v[76:77], v[6:7]
	v_add_f64 v[6:7], v[8:9], v[10:11]
	v_add_f64 v[60:61], v[72:73], v[0:1]
	v_add_f64 v[0:1], v[0:1], -v[12:13]
	v_fma_f64 v[26:27], v[26:27], -0.5, v[30:31]
	v_add_f64 v[16:17], v[30:31], v[16:17]
	v_fma_f64 v[6:7], v[6:7], -0.5, v[4:5]
	v_add_f64 v[60:61], v[60:61], v[12:13]
	v_add_f64 v[4:5], v[4:5], v[8:9]
	v_fma_f64 v[30:31], v[0:1], s[10:11], v[2:3]
	v_fma_f64 v[66:67], v[0:1], s[8:9], v[2:3]
	;; [unrolled: 1-line block ×6, first 2 shown]
	v_add_f64 v[10:11], v[4:5], v[10:11]
	v_add_f64 v[68:69], v[16:17], v[28:29]
	v_mul_f64 v[12:13], v[24:25], s[8:9]
	v_mul_f64 v[64:65], v[26:27], s[8:9]
	v_mul_f64 v[24:25], v[24:25], 0.5
	v_mul_f64 v[26:27], v[26:27], -0.5
	v_add_f64 v[0:1], v[60:61], v[10:11]
	v_add_f64 v[2:3], v[14:15], v[68:69]
	v_fma_f64 v[12:13], v[8:9], 0.5, v[12:13]
	v_fma_f64 v[64:65], v[6:7], -0.5, v[64:65]
	v_fma_f64 v[70:71], v[8:9], s[10:11], v[24:25]
	v_fma_f64 v[72:73], v[6:7], s[10:11], v[26:27]
	v_add_f64 v[8:9], v[60:61], -v[10:11]
	v_add_f64 v[10:11], v[14:15], -v[68:69]
	v_add_f64 v[4:5], v[62:63], v[12:13]
	v_add_f64 v[24:25], v[18:19], v[64:65]
	;; [unrolled: 1-line block ×4, first 2 shown]
	v_add_f64 v[28:29], v[62:63], -v[12:13]
	v_add_f64 v[16:17], v[18:19], -v[64:65]
	;; [unrolled: 1-line block ×4, first 2 shown]
	ds_write_b128 v255, v[0:3]
	ds_write_b128 v255, v[4:7] offset:176
	ds_write_b128 v255, v[24:27] offset:352
	;; [unrolled: 1-line block ×5, first 2 shown]
	s_waitcnt lgkmcnt(0)
	s_barrier
	s_and_saveexec_b64 s[8:9], s[2:3]
	s_cbranch_execz .LBB0_19
; %bb.18:
	ds_read_b128 v[0:3], v237
	ds_read_b128 v[4:7], v237 offset:1056
	ds_read_b128 v[24:27], v237 offset:2112
	ds_read_b128 v[8:11], v237 offset:3168
	ds_read_b128 v[28:31], v237 offset:4224
	ds_read_b128 v[16:19], v237 offset:5280
	ds_read_b128 v[112:115], v237 offset:6336
	ds_read_b128 v[104:107], v237 offset:7392
	ds_read_b128 v[108:111], v237 offset:8448
	ds_read_b128 v[100:103], v237 offset:9504
.LBB0_19:
	s_or_b64 exec, exec, s[8:9]
	s_and_saveexec_b64 s[8:9], s[2:3]
	s_cbranch_execz .LBB0_21
; %bb.20:
	buffer_load_dword v32, off, s[44:47], 0 offset:64 ; 4-byte Folded Reload
	buffer_load_dword v33, off, s[44:47], 0 offset:68 ; 4-byte Folded Reload
	;; [unrolled: 1-line block ×8, first 2 shown]
	s_waitcnt lgkmcnt(7)
	v_mul_f64 v[60:61], v[38:39], v[24:25]
	v_mul_f64 v[46:47], v[38:39], v[26:27]
	s_waitcnt lgkmcnt(5)
	v_mul_f64 v[12:13], v[22:23], v[28:29]
	v_mul_f64 v[64:65], v[246:247], v[6:7]
	s_mov_b32 s2, 0x134454ff
	s_mov_b32 s3, 0xbfee6f0e
	;; [unrolled: 1-line block ×4, first 2 shown]
	v_fma_f64 v[26:27], v[36:37], v[26:27], -v[60:61]
	v_fma_f64 v[24:25], v[36:37], v[24:25], v[46:47]
	v_fma_f64 v[12:13], v[20:21], v[30:31], -v[12:13]
	v_mul_f64 v[30:31], v[22:23], v[30:31]
	v_mul_f64 v[60:61], v[250:251], v[10:11]
	;; [unrolled: 1-line block ×3, first 2 shown]
	s_mov_b32 s16, 0x4755a5e
	s_mov_b32 s17, 0xbfe2cf23
	;; [unrolled: 1-line block ×5, first 2 shown]
	v_fma_f64 v[28:29], v[20:21], v[28:29], v[30:31]
	s_mov_b32 s11, 0x3fd3c6ef
	v_fma_f64 v[10:11], v[248:249], v[10:11], -v[22:23]
	s_mov_b32 s22, 0x9b97f4a8
	s_mov_b32 s23, 0xbfe9e377
	;; [unrolled: 1-line block ×6, first 2 shown]
	s_waitcnt vmcnt(4) lgkmcnt(3)
	v_mul_f64 v[14:15], v[34:35], v[112:113]
	s_waitcnt vmcnt(0) lgkmcnt(1)
	v_mul_f64 v[62:63], v[42:43], v[108:109]
	v_mul_f64 v[58:59], v[42:43], v[110:111]
	v_mul_f64 v[34:35], v[34:35], v[114:115]
	v_fma_f64 v[14:15], v[32:33], v[114:115], -v[14:15]
	v_fma_f64 v[50:51], v[40:41], v[110:111], -v[62:63]
	v_fma_f64 v[44:45], v[40:41], v[108:109], v[58:59]
	buffer_load_dword v40, off, s[44:47], 0 offset:48 ; 4-byte Folded Reload
	buffer_load_dword v41, off, s[44:47], 0 offset:52 ; 4-byte Folded Reload
	;; [unrolled: 1-line block ×12, first 2 shown]
	v_fma_f64 v[30:31], v[32:33], v[112:113], v[34:35]
	v_add_f64 v[32:33], v[26:27], -v[12:13]
	v_add_f64 v[46:47], v[12:13], v[14:15]
	v_add_f64 v[76:77], v[26:27], v[50:51]
	v_add_f64 v[34:35], v[50:51], -v[14:15]
	v_add_f64 v[48:49], v[24:25], -v[44:45]
	;; [unrolled: 1-line block ×4, first 2 shown]
	v_fma_f64 v[46:47], v[46:47], -0.5, v[2:3]
	v_fma_f64 v[76:77], v[76:77], -0.5, v[2:3]
	v_add_f64 v[2:3], v[2:3], v[26:27]
	v_add_f64 v[32:33], v[32:33], v[34:35]
	v_fma_f64 v[34:35], v[48:49], s[2:3], v[46:47]
	v_fma_f64 v[90:91], v[66:67], s[18:19], v[76:77]
	;; [unrolled: 1-line block ×3, first 2 shown]
	v_add_f64 v[2:3], v[2:3], v[12:13]
	v_fma_f64 v[34:35], v[66:67], s[16:17], v[34:35]
	v_fma_f64 v[76:77], v[48:49], s[20:21], v[76:77]
	v_add_f64 v[2:3], v[2:3], v[14:15]
	v_fma_f64 v[34:35], v[32:33], s[10:11], v[34:35]
	s_waitcnt vmcnt(8)
	v_mul_f64 v[56:57], v[42:43], v[18:19]
	s_waitcnt vmcnt(4)
	v_mul_f64 v[58:59], v[38:39], v[106:107]
	s_waitcnt vmcnt(0) lgkmcnt(0)
	v_mul_f64 v[62:63], v[54:55], v[102:103]
	v_mul_f64 v[54:55], v[54:55], v[100:101]
	v_fma_f64 v[56:57], v[40:41], v[16:17], v[56:57]
	v_mul_f64 v[16:17], v[42:43], v[16:17]
	v_fma_f64 v[42:43], v[248:249], v[8:9], v[60:61]
	;; [unrolled: 2-line block ×3, first 2 shown]
	v_fma_f64 v[20:21], v[52:53], v[102:103], -v[54:55]
	v_mul_f64 v[4:5], v[246:247], v[4:5]
	v_fma_f64 v[58:59], v[36:37], v[104:105], v[58:59]
	v_fma_f64 v[38:39], v[52:53], v[100:101], v[62:63]
	v_fma_f64 v[16:17], v[40:41], v[18:19], -v[16:17]
	v_add_f64 v[82:83], v[56:57], -v[42:43]
	v_fma_f64 v[18:19], v[36:37], v[106:107], -v[8:9]
	v_add_f64 v[8:9], v[42:43], -v[56:57]
	v_add_f64 v[52:53], v[10:11], v[20:21]
	v_fma_f64 v[6:7], v[244:245], v[6:7], -v[4:5]
	v_add_f64 v[62:63], v[56:57], v[58:59]
	v_add_f64 v[70:71], v[42:43], v[38:39]
	v_add_f64 v[64:65], v[10:11], -v[16:17]
	v_add_f64 v[72:73], v[56:57], -v[58:59]
	;; [unrolled: 1-line block ×5, first 2 shown]
	v_fma_f64 v[52:53], v[52:53], -0.5, v[6:7]
	v_fma_f64 v[36:37], v[62:63], -0.5, v[60:61]
	v_add_f64 v[62:63], v[16:17], -v[18:19]
	v_add_f64 v[22:23], v[38:39], -v[58:59]
	;; [unrolled: 1-line block ×3, first 2 shown]
	v_add_f64 v[64:65], v[64:65], v[68:69]
	v_fma_f64 v[68:69], v[70:71], -0.5, v[60:61]
	v_add_f64 v[70:71], v[16:17], -v[10:11]
	v_fma_f64 v[80:81], v[72:73], s[18:19], v[52:53]
	v_fma_f64 v[52:53], v[72:73], s[2:3], v[52:53]
	v_add_f64 v[4:5], v[16:17], v[18:19]
	v_add_f64 v[84:85], v[58:59], -v[38:39]
	v_add_f64 v[22:23], v[8:9], v[22:23]
	v_fma_f64 v[8:9], v[40:41], s[18:19], v[36:37]
	v_fma_f64 v[86:87], v[62:63], s[2:3], v[68:69]
	v_add_f64 v[70:71], v[70:71], v[78:79]
	v_fma_f64 v[68:69], v[62:63], s[18:19], v[68:69]
	v_fma_f64 v[52:53], v[54:55], s[20:21], v[52:53]
	v_fma_f64 v[4:5], v[4:5], -0.5, v[6:7]
	v_fma_f64 v[78:79], v[54:55], s[16:17], v[80:81]
	v_add_f64 v[80:81], v[12:13], -v[26:27]
	v_add_f64 v[82:83], v[82:83], v[84:85]
	v_fma_f64 v[84:85], v[40:41], s[20:21], v[86:87]
	v_fma_f64 v[36:37], v[40:41], s[2:3], v[36:37]
	;; [unrolled: 1-line block ×4, first 2 shown]
	v_add_f64 v[6:7], v[6:7], v[10:11]
	v_fma_f64 v[10:11], v[48:49], s[18:19], v[46:47]
	v_add_f64 v[80:81], v[80:81], v[88:89]
	v_fma_f64 v[88:89], v[48:49], s[16:17], v[90:91]
	v_fma_f64 v[74:75], v[54:55], s[2:3], v[4:5]
	;; [unrolled: 1-line block ×4, first 2 shown]
	v_mul_f64 v[48:49], v[52:53], s[10:11]
	v_add_f64 v[6:7], v[6:7], v[16:17]
	v_fma_f64 v[10:11], v[66:67], s[20:21], v[10:11]
	v_add_f64 v[16:17], v[28:29], v[30:31]
	v_fma_f64 v[8:9], v[62:63], s[20:21], v[8:9]
	v_fma_f64 v[36:37], v[62:63], s[16:17], v[36:37]
	v_add_f64 v[26:27], v[26:27], -v[50:51]
	v_add_f64 v[50:51], v[2:3], v[50:51]
	v_add_f64 v[2:3], v[12:13], -v[14:15]
	v_add_f64 v[6:7], v[6:7], v[18:19]
	v_fma_f64 v[18:19], v[40:41], s[18:19], v[48:49]
	v_add_f64 v[48:49], v[24:25], v[44:45]
	v_fma_f64 v[10:11], v[32:33], s[10:11], v[10:11]
	v_fma_f64 v[32:33], v[16:17], -0.5, v[0:1]
	v_add_f64 v[14:15], v[24:25], -v[28:29]
	v_add_f64 v[66:67], v[28:29], -v[24:25]
	v_fma_f64 v[74:75], v[72:73], s[16:17], v[74:75]
	v_add_f64 v[62:63], v[6:7], v[20:21]
	v_fma_f64 v[54:55], v[72:73], s[20:21], v[54:55]
	v_fma_f64 v[6:7], v[48:49], -0.5, v[0:1]
	v_add_f64 v[0:1], v[0:1], v[24:25]
	v_add_f64 v[24:25], v[60:61], v[42:43]
	v_add_f64 v[48:49], v[44:45], -v[30:31]
	v_fma_f64 v[78:79], v[70:71], s[10:11], v[78:79]
	v_fma_f64 v[74:75], v[64:65], s[10:11], v[74:75]
	v_add_f64 v[68:69], v[30:31], -v[44:45]
	v_fma_f64 v[54:55], v[64:65], s[10:11], v[54:55]
	v_fma_f64 v[64:65], v[26:27], s[18:19], v[32:33]
	v_add_f64 v[0:1], v[0:1], v[28:29]
	v_add_f64 v[24:25], v[24:25], v[56:57]
	v_fma_f64 v[32:33], v[26:27], s[2:3], v[32:33]
	v_fma_f64 v[70:71], v[2:3], s[2:3], v[6:7]
	;; [unrolled: 1-line block ×4, first 2 shown]
	v_mul_f64 v[8:9], v[74:75], s[22:23]
	v_fma_f64 v[22:23], v[22:23], s[10:11], v[36:37]
	v_add_f64 v[0:1], v[0:1], v[30:31]
	v_add_f64 v[24:25], v[24:25], v[58:59]
	v_mul_f64 v[36:37], v[54:55], s[26:27]
	v_add_f64 v[14:15], v[14:15], v[48:49]
	v_fma_f64 v[48:49], v[2:3], s[20:21], v[64:65]
	v_fma_f64 v[28:29], v[2:3], s[16:17], v[32:33]
	v_mul_f64 v[30:31], v[54:55], s[16:17]
	v_add_f64 v[60:61], v[66:67], v[68:69]
	v_fma_f64 v[64:65], v[26:27], s[20:21], v[70:71]
	v_fma_f64 v[26:27], v[26:27], s[16:17], v[6:7]
	v_mul_f64 v[32:33], v[52:53], s[2:3]
	v_fma_f64 v[84:85], v[82:83], s[10:11], v[84:85]
	v_mul_f64 v[90:91], v[78:79], s[24:25]
	v_mul_f64 v[66:67], v[78:79], s[2:3]
	;; [unrolled: 1-line block ×3, first 2 shown]
	v_add_f64 v[0:1], v[0:1], v[44:45]
	v_add_f64 v[44:45], v[24:25], v[38:39]
	v_fma_f64 v[92:93], v[86:87], s[20:21], v[8:9]
	v_fma_f64 v[36:37], v[22:23], s[20:21], v[36:37]
	;; [unrolled: 1-line block ×13, first 2 shown]
	v_add_f64 v[40:41], v[50:51], v[62:63]
	v_add_f64 v[38:39], v[0:1], v[44:45]
	v_add_f64 v[4:5], v[34:35], -v[92:93]
	v_add_f64 v[16:17], v[10:11], -v[36:37]
	v_add_f64 v[24:25], v[34:35], v[92:93]
	v_add_f64 v[36:37], v[10:11], v[36:37]
	;; [unrolled: 1-line block ×8, first 2 shown]
	v_add_f64 v[12:13], v[46:47], -v[18:19]
	v_add_f64 v[20:21], v[50:51], -v[62:63]
	;; [unrolled: 1-line block ×8, first 2 shown]
	ds_write_b128 v237, v[38:41]
	ds_write_b128 v237, v[34:37] offset:1056
	ds_write_b128 v237, v[30:33] offset:2112
	;; [unrolled: 1-line block ×9, first 2 shown]
.LBB0_21:
	s_or_b64 exec, exec, s[8:9]
	s_waitcnt lgkmcnt(0)
	s_barrier
	s_and_b64 exec, exec, s[0:1]
	s_cbranch_execz .LBB0_23
; %bb.22:
	global_load_dwordx4 v[0:3], v237, s[14:15]
	global_load_dwordx4 v[4:7], v237, s[14:15] offset:960
	global_load_dwordx4 v[8:11], v237, s[14:15] offset:1920
	;; [unrolled: 1-line block ×4, first 2 shown]
	v_mad_u64_u32 v[72:73], s[0:1], s6, v243, 0
	v_mov_b32_e32 v20, s15
	v_add_co_u32_e32 v56, vcc, s14, v237
	s_movk_i32 s0, 0x1000
	v_addc_co_u32_e32 v57, vcc, 0, v20, vcc
	v_add_co_u32_e32 v64, vcc, s0, v56
	v_addc_co_u32_e32 v65, vcc, 0, v57, vcc
	global_load_dwordx4 v[20:23], v[64:65], off offset:704
	ds_read_b128 v[24:27], v237
	ds_read_b128 v[28:31], v237 offset:960
	ds_read_b128 v[32:35], v237 offset:1920
	;; [unrolled: 1-line block ×5, first 2 shown]
	global_load_dwordx4 v[52:55], v[64:65], off offset:1664
	v_mad_u64_u32 v[74:75], s[2:3], s4, v239, 0
	s_mul_hi_u32 s6, s4, 0x3c0
	s_mul_i32 s2, s4, 0x3c0
	s_movk_i32 s4, 0x2000
	v_add_co_u32_e32 v76, vcc, s4, v56
	ds_read_b128 v[48:51], v237 offset:9600
	v_addc_co_u32_e32 v77, vcc, 0, v57, vcc
	global_load_dwordx4 v[56:59], v[64:65], off offset:2624
	global_load_dwordx4 v[60:63], v[64:65], off offset:3584
	s_mul_i32 s3, s5, 0x3c0
	v_mov_b32_e32 v64, v73
	v_mov_b32_e32 v65, v75
	s_add_i32 s3, s6, s3
	v_mad_u64_u32 v[78:79], s[6:7], s7, v243, v[64:65]
	v_mad_u64_u32 v[79:80], s[4:5], s5, v239, v[65:66]
	global_load_dwordx4 v[64:67], v[76:77], off offset:448
	global_load_dwordx4 v[68:71], v[76:77], off offset:1408
	v_mov_b32_e32 v73, v78
	v_lshlrev_b64 v[72:73], 4, v[72:73]
	v_mov_b32_e32 v75, v79
	v_mov_b32_e32 v81, s13
	v_lshlrev_b64 v[74:75], 4, v[74:75]
	v_add_co_u32_e32 v72, vcc, s12, v72
	v_addc_co_u32_e32 v73, vcc, v81, v73, vcc
	v_add_co_u32_e32 v72, vcc, v72, v74
	v_addc_co_u32_e32 v73, vcc, v73, v75, vcc
	v_mov_b32_e32 v82, s3
	v_add_co_u32_e32 v74, vcc, s2, v72
	v_addc_co_u32_e32 v75, vcc, v73, v82, vcc
	v_mov_b32_e32 v83, s3
	v_add_co_u32_e32 v76, vcc, s2, v74
	v_addc_co_u32_e32 v77, vcc, v75, v83, vcc
	s_mov_b32 s0, 0x8d3018d3
	s_mov_b32 s1, 0x3f58d301
	v_mov_b32_e32 v88, s3
	s_waitcnt vmcnt(10) lgkmcnt(6)
	v_mul_f64 v[78:79], v[26:27], v[2:3]
	v_mul_f64 v[2:3], v[24:25], v[2:3]
	s_waitcnt vmcnt(9) lgkmcnt(5)
	v_mul_f64 v[80:81], v[30:31], v[6:7]
	v_mul_f64 v[6:7], v[28:29], v[6:7]
	;; [unrolled: 3-line block ×4, first 2 shown]
	v_fma_f64 v[24:25], v[24:25], v[0:1], v[78:79]
	v_fma_f64 v[2:3], v[0:1], v[26:27], -v[2:3]
	v_fma_f64 v[26:27], v[28:29], v[4:5], v[80:81]
	v_fma_f64 v[6:7], v[4:5], v[30:31], -v[6:7]
	;; [unrolled: 2-line block ×3, first 2 shown]
	s_waitcnt vmcnt(6) lgkmcnt(2)
	v_mul_f64 v[86:87], v[42:43], v[18:19]
	v_mul_f64 v[18:19], v[40:41], v[18:19]
	v_fma_f64 v[30:31], v[36:37], v[12:13], v[84:85]
	v_fma_f64 v[14:15], v[12:13], v[38:39], -v[14:15]
	v_mul_f64 v[0:1], v[24:25], s[0:1]
	v_mul_f64 v[2:3], v[2:3], s[0:1]
	v_mul_f64 v[4:5], v[26:27], s[0:1]
	v_mul_f64 v[6:7], v[6:7], s[0:1]
	v_mul_f64 v[8:9], v[28:29], s[0:1]
	v_mul_f64 v[10:11], v[10:11], s[0:1]
	s_waitcnt vmcnt(5) lgkmcnt(1)
	v_mul_f64 v[24:25], v[46:47], v[22:23]
	v_fma_f64 v[26:27], v[40:41], v[16:17], v[86:87]
	v_fma_f64 v[16:17], v[16:17], v[42:43], -v[18:19]
	v_mul_f64 v[12:13], v[30:31], s[0:1]
	v_mul_f64 v[14:15], v[14:15], s[0:1]
	global_store_dwordx4 v[72:73], v[0:3], off
	global_store_dwordx4 v[74:75], v[4:7], off
	;; [unrolled: 1-line block ×3, first 2 shown]
	ds_read_b128 v[4:7], v237 offset:5760
	v_mul_f64 v[8:9], v[44:45], v[22:23]
	v_add_co_u32_e32 v18, vcc, s2, v76
	v_addc_co_u32_e32 v19, vcc, v77, v88, vcc
	global_store_dwordx4 v[18:19], v[12:15], off
	v_mul_f64 v[0:1], v[26:27], s[0:1]
	v_mul_f64 v[2:3], v[16:17], s[0:1]
	v_fma_f64 v[12:13], v[44:45], v[20:21], v[24:25]
	v_fma_f64 v[14:15], v[20:21], v[46:47], -v[8:9]
	ds_read_b128 v[8:11], v237 offset:6720
	s_waitcnt vmcnt(8) lgkmcnt(1)
	v_mul_f64 v[16:17], v[6:7], v[54:55]
	v_mul_f64 v[20:21], v[4:5], v[54:55]
	v_mov_b32_e32 v22, s3
	v_add_co_u32_e32 v18, vcc, s2, v18
	v_addc_co_u32_e32 v19, vcc, v19, v22, vcc
	global_store_dwordx4 v[18:19], v[0:3], off
	v_fma_f64 v[4:5], v[4:5], v[52:53], v[16:17]
	v_mul_f64 v[0:1], v[12:13], s[0:1]
	v_mul_f64 v[2:3], v[14:15], s[0:1]
	v_fma_f64 v[6:7], v[52:53], v[6:7], -v[20:21]
	s_waitcnt vmcnt(8) lgkmcnt(0)
	v_mul_f64 v[12:13], v[10:11], v[58:59]
	v_mul_f64 v[14:15], v[8:9], v[58:59]
	v_add_co_u32_e32 v16, vcc, s2, v18
	v_addc_co_u32_e32 v17, vcc, v19, v22, vcc
	global_store_dwordx4 v[16:17], v[0:3], off
	v_add_co_u32_e32 v16, vcc, s2, v16
	v_mul_f64 v[0:1], v[4:5], s[0:1]
	v_mul_f64 v[2:3], v[6:7], s[0:1]
	ds_read_b128 v[4:7], v237 offset:7680
	v_fma_f64 v[12:13], v[8:9], v[56:57], v[12:13]
	v_fma_f64 v[14:15], v[56:57], v[10:11], -v[14:15]
	ds_read_b128 v[8:11], v237 offset:8640
	v_addc_co_u32_e32 v17, vcc, v17, v22, vcc
	s_waitcnt vmcnt(8) lgkmcnt(1)
	v_mul_f64 v[18:19], v[6:7], v[62:63]
	v_mul_f64 v[20:21], v[4:5], v[62:63]
	global_store_dwordx4 v[16:17], v[0:3], off
	v_fma_f64 v[4:5], v[4:5], v[60:61], v[18:19]
	v_mul_f64 v[0:1], v[12:13], s[0:1]
	v_mov_b32_e32 v13, s3
	v_add_co_u32_e32 v12, vcc, s2, v16
	v_mul_f64 v[2:3], v[14:15], s[0:1]
	v_fma_f64 v[6:7], v[60:61], v[6:7], -v[20:21]
	v_addc_co_u32_e32 v13, vcc, v17, v13, vcc
	s_waitcnt vmcnt(8) lgkmcnt(0)
	v_mul_f64 v[14:15], v[10:11], v[66:67]
	v_mul_f64 v[16:17], v[8:9], v[66:67]
	s_waitcnt vmcnt(7)
	v_mul_f64 v[18:19], v[50:51], v[70:71]
	v_mul_f64 v[20:21], v[48:49], v[70:71]
	global_store_dwordx4 v[12:13], v[0:3], off
	v_add_co_u32_e32 v12, vcc, s2, v12
	v_mul_f64 v[0:1], v[4:5], s[0:1]
	v_mul_f64 v[2:3], v[6:7], s[0:1]
	v_fma_f64 v[4:5], v[8:9], v[64:65], v[14:15]
	v_fma_f64 v[6:7], v[64:65], v[10:11], -v[16:17]
	v_fma_f64 v[8:9], v[48:49], v[68:69], v[18:19]
	v_fma_f64 v[10:11], v[68:69], v[50:51], -v[20:21]
	v_addc_co_u32_e32 v13, vcc, v13, v22, vcc
	v_mov_b32_e32 v14, s3
	global_store_dwordx4 v[12:13], v[0:3], off
	s_nop 0
	v_mul_f64 v[0:1], v[4:5], s[0:1]
	v_mul_f64 v[2:3], v[6:7], s[0:1]
	;; [unrolled: 1-line block ×4, first 2 shown]
	v_add_co_u32_e32 v8, vcc, s2, v12
	v_addc_co_u32_e32 v9, vcc, v13, v14, vcc
	global_store_dwordx4 v[8:9], v[0:3], off
	s_nop 0
	v_mov_b32_e32 v1, s3
	v_add_co_u32_e32 v0, vcc, s2, v8
	v_addc_co_u32_e32 v1, vcc, v9, v1, vcc
	global_store_dwordx4 v[0:1], v[4:7], off
.LBB0_23:
	s_endpgm
	.section	.rodata,"a",@progbits
	.p2align	6, 0x0
	.amdhsa_kernel bluestein_single_back_len660_dim1_dp_op_CI_CI
		.amdhsa_group_segment_fixed_size 10560
		.amdhsa_private_segment_fixed_size 212
		.amdhsa_kernarg_size 104
		.amdhsa_user_sgpr_count 6
		.amdhsa_user_sgpr_private_segment_buffer 1
		.amdhsa_user_sgpr_dispatch_ptr 0
		.amdhsa_user_sgpr_queue_ptr 0
		.amdhsa_user_sgpr_kernarg_segment_ptr 1
		.amdhsa_user_sgpr_dispatch_id 0
		.amdhsa_user_sgpr_flat_scratch_init 0
		.amdhsa_user_sgpr_private_segment_size 0
		.amdhsa_uses_dynamic_stack 0
		.amdhsa_system_sgpr_private_segment_wavefront_offset 1
		.amdhsa_system_sgpr_workgroup_id_x 1
		.amdhsa_system_sgpr_workgroup_id_y 0
		.amdhsa_system_sgpr_workgroup_id_z 0
		.amdhsa_system_sgpr_workgroup_info 0
		.amdhsa_system_vgpr_workitem_id 0
		.amdhsa_next_free_vgpr 256
		.amdhsa_next_free_sgpr 48
		.amdhsa_reserve_vcc 1
		.amdhsa_reserve_flat_scratch 0
		.amdhsa_float_round_mode_32 0
		.amdhsa_float_round_mode_16_64 0
		.amdhsa_float_denorm_mode_32 3
		.amdhsa_float_denorm_mode_16_64 3
		.amdhsa_dx10_clamp 1
		.amdhsa_ieee_mode 1
		.amdhsa_fp16_overflow 0
		.amdhsa_exception_fp_ieee_invalid_op 0
		.amdhsa_exception_fp_denorm_src 0
		.amdhsa_exception_fp_ieee_div_zero 0
		.amdhsa_exception_fp_ieee_overflow 0
		.amdhsa_exception_fp_ieee_underflow 0
		.amdhsa_exception_fp_ieee_inexact 0
		.amdhsa_exception_int_div_zero 0
	.end_amdhsa_kernel
	.text
.Lfunc_end0:
	.size	bluestein_single_back_len660_dim1_dp_op_CI_CI, .Lfunc_end0-bluestein_single_back_len660_dim1_dp_op_CI_CI
                                        ; -- End function
	.section	.AMDGPU.csdata,"",@progbits
; Kernel info:
; codeLenInByte = 15640
; NumSgprs: 52
; NumVgprs: 256
; ScratchSize: 212
; MemoryBound: 0
; FloatMode: 240
; IeeeMode: 1
; LDSByteSize: 10560 bytes/workgroup (compile time only)
; SGPRBlocks: 6
; VGPRBlocks: 63
; NumSGPRsForWavesPerEU: 52
; NumVGPRsForWavesPerEU: 256
; Occupancy: 1
; WaveLimiterHint : 1
; COMPUTE_PGM_RSRC2:SCRATCH_EN: 1
; COMPUTE_PGM_RSRC2:USER_SGPR: 6
; COMPUTE_PGM_RSRC2:TRAP_HANDLER: 0
; COMPUTE_PGM_RSRC2:TGID_X_EN: 1
; COMPUTE_PGM_RSRC2:TGID_Y_EN: 0
; COMPUTE_PGM_RSRC2:TGID_Z_EN: 0
; COMPUTE_PGM_RSRC2:TIDIG_COMP_CNT: 0
	.type	__hip_cuid_c9a3b69361e7709,@object ; @__hip_cuid_c9a3b69361e7709
	.section	.bss,"aw",@nobits
	.globl	__hip_cuid_c9a3b69361e7709
__hip_cuid_c9a3b69361e7709:
	.byte	0                               ; 0x0
	.size	__hip_cuid_c9a3b69361e7709, 1

	.ident	"AMD clang version 19.0.0git (https://github.com/RadeonOpenCompute/llvm-project roc-6.4.0 25133 c7fe45cf4b819c5991fe208aaa96edf142730f1d)"
	.section	".note.GNU-stack","",@progbits
	.addrsig
	.addrsig_sym __hip_cuid_c9a3b69361e7709
	.amdgpu_metadata
---
amdhsa.kernels:
  - .args:
      - .actual_access:  read_only
        .address_space:  global
        .offset:         0
        .size:           8
        .value_kind:     global_buffer
      - .actual_access:  read_only
        .address_space:  global
        .offset:         8
        .size:           8
        .value_kind:     global_buffer
      - .actual_access:  read_only
        .address_space:  global
        .offset:         16
        .size:           8
        .value_kind:     global_buffer
      - .actual_access:  read_only
        .address_space:  global
        .offset:         24
        .size:           8
        .value_kind:     global_buffer
      - .actual_access:  read_only
        .address_space:  global
        .offset:         32
        .size:           8
        .value_kind:     global_buffer
      - .offset:         40
        .size:           8
        .value_kind:     by_value
      - .address_space:  global
        .offset:         48
        .size:           8
        .value_kind:     global_buffer
      - .address_space:  global
        .offset:         56
        .size:           8
        .value_kind:     global_buffer
      - .address_space:  global
        .offset:         64
        .size:           8
        .value_kind:     global_buffer
      - .address_space:  global
        .offset:         72
        .size:           8
        .value_kind:     global_buffer
      - .offset:         80
        .size:           4
        .value_kind:     by_value
      - .address_space:  global
        .offset:         88
        .size:           8
        .value_kind:     global_buffer
      - .address_space:  global
        .offset:         96
        .size:           8
        .value_kind:     global_buffer
    .group_segment_fixed_size: 10560
    .kernarg_segment_align: 8
    .kernarg_segment_size: 104
    .language:       OpenCL C
    .language_version:
      - 2
      - 0
    .max_flat_workgroup_size: 110
    .name:           bluestein_single_back_len660_dim1_dp_op_CI_CI
    .private_segment_fixed_size: 212
    .sgpr_count:     52
    .sgpr_spill_count: 0
    .symbol:         bluestein_single_back_len660_dim1_dp_op_CI_CI.kd
    .uniform_work_group_size: 1
    .uses_dynamic_stack: false
    .vgpr_count:     256
    .vgpr_spill_count: 56
    .wavefront_size: 64
amdhsa.target:   amdgcn-amd-amdhsa--gfx906
amdhsa.version:
  - 1
  - 2
...

	.end_amdgpu_metadata
